;; amdgpu-corpus repo=ROCm/rocFFT kind=compiled arch=gfx1100 opt=O3
	.text
	.amdgcn_target "amdgcn-amd-amdhsa--gfx1100"
	.amdhsa_code_object_version 6
	.protected	fft_rtc_back_len150_factors_10_5_3_wgs_60_tpt_5_halfLds_sp_op_CI_CI_unitstride_sbrr_dirReg ; -- Begin function fft_rtc_back_len150_factors_10_5_3_wgs_60_tpt_5_halfLds_sp_op_CI_CI_unitstride_sbrr_dirReg
	.globl	fft_rtc_back_len150_factors_10_5_3_wgs_60_tpt_5_halfLds_sp_op_CI_CI_unitstride_sbrr_dirReg
	.p2align	8
	.type	fft_rtc_back_len150_factors_10_5_3_wgs_60_tpt_5_halfLds_sp_op_CI_CI_unitstride_sbrr_dirReg,@function
fft_rtc_back_len150_factors_10_5_3_wgs_60_tpt_5_halfLds_sp_op_CI_CI_unitstride_sbrr_dirReg: ; @fft_rtc_back_len150_factors_10_5_3_wgs_60_tpt_5_halfLds_sp_op_CI_CI_unitstride_sbrr_dirReg
; %bb.0:
	s_load_b128 s[8:11], s[0:1], 0x0
	v_mul_u32_u24_e32 v1, 0x3334, v0
	s_clause 0x1
	s_load_b128 s[4:7], s[0:1], 0x58
	s_load_b128 s[16:19], s[0:1], 0x18
	v_dual_mov_b32 v5, 0 :: v_dual_mov_b32 v32, 0
	v_mov_b32_e32 v33, 0
	v_lshrrev_b32_e32 v1, 16, v1
	s_delay_alu instid0(VALU_DEP_1) | instskip(NEXT) | instid1(VALU_DEP_4)
	v_mad_u64_u32 v[27:28], null, s15, 12, v[1:2]
	v_dual_mov_b32 v28, v5 :: v_dual_mov_b32 v1, v32
	s_delay_alu instid0(VALU_DEP_2) | instskip(NEXT) | instid1(VALU_DEP_2)
	v_dual_mov_b32 v2, v33 :: v_dual_mov_b32 v3, v27
	v_mov_b32_e32 v4, v28
	s_waitcnt lgkmcnt(0)
	v_cmp_lt_u64_e64 s2, s[10:11], 2
	s_delay_alu instid0(VALU_DEP_1)
	s_and_b32 vcc_lo, exec_lo, s2
	s_cbranch_vccnz .LBB0_8
; %bb.1:
	s_load_b64 s[2:3], s[0:1], 0x10
	v_dual_mov_b32 v32, 0 :: v_dual_mov_b32 v7, v27
	v_dual_mov_b32 v33, 0 :: v_dual_mov_b32 v8, v28
	s_add_u32 s12, s18, 8
	s_addc_u32 s13, s19, 0
	s_add_u32 s14, s16, 8
	s_delay_alu instid0(VALU_DEP_1)
	v_dual_mov_b32 v1, v32 :: v_dual_mov_b32 v2, v33
	s_addc_u32 s15, s17, 0
	s_mov_b64 s[22:23], 1
	s_waitcnt lgkmcnt(0)
	s_add_u32 s20, s2, 8
	s_addc_u32 s21, s3, 0
.LBB0_2:                                ; =>This Inner Loop Header: Depth=1
	s_load_b64 s[24:25], s[20:21], 0x0
                                        ; implicit-def: $vgpr3_vgpr4
	s_mov_b32 s2, exec_lo
	s_waitcnt lgkmcnt(0)
	v_or_b32_e32 v6, s25, v8
	s_delay_alu instid0(VALU_DEP_1)
	v_cmpx_ne_u64_e32 0, v[5:6]
	s_xor_b32 s3, exec_lo, s2
	s_cbranch_execz .LBB0_4
; %bb.3:                                ;   in Loop: Header=BB0_2 Depth=1
	v_cvt_f32_u32_e32 v3, s24
	v_cvt_f32_u32_e32 v4, s25
	s_sub_u32 s2, 0, s24
	s_subb_u32 s26, 0, s25
	s_delay_alu instid0(VALU_DEP_1) | instskip(NEXT) | instid1(VALU_DEP_1)
	v_fmac_f32_e32 v3, 0x4f800000, v4
	v_rcp_f32_e32 v3, v3
	s_waitcnt_depctr 0xfff
	v_mul_f32_e32 v3, 0x5f7ffffc, v3
	s_delay_alu instid0(VALU_DEP_1) | instskip(NEXT) | instid1(VALU_DEP_1)
	v_mul_f32_e32 v4, 0x2f800000, v3
	v_trunc_f32_e32 v4, v4
	s_delay_alu instid0(VALU_DEP_1) | instskip(SKIP_1) | instid1(VALU_DEP_2)
	v_fmac_f32_e32 v3, 0xcf800000, v4
	v_cvt_u32_f32_e32 v4, v4
	v_cvt_u32_f32_e32 v3, v3
	s_delay_alu instid0(VALU_DEP_2) | instskip(NEXT) | instid1(VALU_DEP_2)
	v_mul_lo_u32 v6, s2, v4
	v_mul_hi_u32 v9, s2, v3
	v_mul_lo_u32 v10, s26, v3
	s_delay_alu instid0(VALU_DEP_2) | instskip(SKIP_1) | instid1(VALU_DEP_2)
	v_add_nc_u32_e32 v6, v9, v6
	v_mul_lo_u32 v9, s2, v3
	v_add_nc_u32_e32 v6, v6, v10
	s_delay_alu instid0(VALU_DEP_2) | instskip(NEXT) | instid1(VALU_DEP_2)
	v_mul_hi_u32 v10, v3, v9
	v_mul_lo_u32 v11, v3, v6
	v_mul_hi_u32 v12, v3, v6
	v_mul_hi_u32 v13, v4, v9
	v_mul_lo_u32 v9, v4, v9
	v_mul_hi_u32 v14, v4, v6
	v_mul_lo_u32 v6, v4, v6
	v_add_co_u32 v10, vcc_lo, v10, v11
	v_add_co_ci_u32_e32 v11, vcc_lo, 0, v12, vcc_lo
	s_delay_alu instid0(VALU_DEP_2) | instskip(NEXT) | instid1(VALU_DEP_2)
	v_add_co_u32 v9, vcc_lo, v10, v9
	v_add_co_ci_u32_e32 v9, vcc_lo, v11, v13, vcc_lo
	v_add_co_ci_u32_e32 v10, vcc_lo, 0, v14, vcc_lo
	s_delay_alu instid0(VALU_DEP_2) | instskip(NEXT) | instid1(VALU_DEP_2)
	v_add_co_u32 v6, vcc_lo, v9, v6
	v_add_co_ci_u32_e32 v9, vcc_lo, 0, v10, vcc_lo
	s_delay_alu instid0(VALU_DEP_2) | instskip(NEXT) | instid1(VALU_DEP_2)
	v_add_co_u32 v3, vcc_lo, v3, v6
	v_add_co_ci_u32_e32 v4, vcc_lo, v4, v9, vcc_lo
	s_delay_alu instid0(VALU_DEP_2) | instskip(SKIP_1) | instid1(VALU_DEP_3)
	v_mul_hi_u32 v6, s2, v3
	v_mul_lo_u32 v10, s26, v3
	v_mul_lo_u32 v9, s2, v4
	s_delay_alu instid0(VALU_DEP_1) | instskip(SKIP_1) | instid1(VALU_DEP_2)
	v_add_nc_u32_e32 v6, v6, v9
	v_mul_lo_u32 v9, s2, v3
	v_add_nc_u32_e32 v6, v6, v10
	s_delay_alu instid0(VALU_DEP_2) | instskip(NEXT) | instid1(VALU_DEP_2)
	v_mul_hi_u32 v10, v3, v9
	v_mul_lo_u32 v11, v3, v6
	v_mul_hi_u32 v12, v3, v6
	v_mul_hi_u32 v13, v4, v9
	v_mul_lo_u32 v9, v4, v9
	v_mul_hi_u32 v14, v4, v6
	v_mul_lo_u32 v6, v4, v6
	v_add_co_u32 v10, vcc_lo, v10, v11
	v_add_co_ci_u32_e32 v11, vcc_lo, 0, v12, vcc_lo
	s_delay_alu instid0(VALU_DEP_2) | instskip(NEXT) | instid1(VALU_DEP_2)
	v_add_co_u32 v9, vcc_lo, v10, v9
	v_add_co_ci_u32_e32 v9, vcc_lo, v11, v13, vcc_lo
	v_add_co_ci_u32_e32 v10, vcc_lo, 0, v14, vcc_lo
	s_delay_alu instid0(VALU_DEP_2) | instskip(NEXT) | instid1(VALU_DEP_2)
	v_add_co_u32 v6, vcc_lo, v9, v6
	v_add_co_ci_u32_e32 v9, vcc_lo, 0, v10, vcc_lo
	s_delay_alu instid0(VALU_DEP_2) | instskip(NEXT) | instid1(VALU_DEP_2)
	v_add_co_u32 v6, vcc_lo, v3, v6
	v_add_co_ci_u32_e32 v13, vcc_lo, v4, v9, vcc_lo
	s_delay_alu instid0(VALU_DEP_2) | instskip(SKIP_1) | instid1(VALU_DEP_3)
	v_mul_hi_u32 v14, v7, v6
	v_mad_u64_u32 v[9:10], null, v8, v6, 0
	v_mad_u64_u32 v[3:4], null, v7, v13, 0
	v_mad_u64_u32 v[11:12], null, v8, v13, 0
	s_delay_alu instid0(VALU_DEP_2) | instskip(NEXT) | instid1(VALU_DEP_3)
	v_add_co_u32 v3, vcc_lo, v14, v3
	v_add_co_ci_u32_e32 v4, vcc_lo, 0, v4, vcc_lo
	s_delay_alu instid0(VALU_DEP_2) | instskip(NEXT) | instid1(VALU_DEP_2)
	v_add_co_u32 v3, vcc_lo, v3, v9
	v_add_co_ci_u32_e32 v3, vcc_lo, v4, v10, vcc_lo
	v_add_co_ci_u32_e32 v4, vcc_lo, 0, v12, vcc_lo
	s_delay_alu instid0(VALU_DEP_2) | instskip(NEXT) | instid1(VALU_DEP_2)
	v_add_co_u32 v6, vcc_lo, v3, v11
	v_add_co_ci_u32_e32 v9, vcc_lo, 0, v4, vcc_lo
	s_delay_alu instid0(VALU_DEP_2) | instskip(SKIP_1) | instid1(VALU_DEP_3)
	v_mul_lo_u32 v10, s25, v6
	v_mad_u64_u32 v[3:4], null, s24, v6, 0
	v_mul_lo_u32 v11, s24, v9
	s_delay_alu instid0(VALU_DEP_2) | instskip(NEXT) | instid1(VALU_DEP_2)
	v_sub_co_u32 v3, vcc_lo, v7, v3
	v_add3_u32 v4, v4, v11, v10
	s_delay_alu instid0(VALU_DEP_1) | instskip(NEXT) | instid1(VALU_DEP_1)
	v_sub_nc_u32_e32 v10, v8, v4
	v_subrev_co_ci_u32_e64 v10, s2, s25, v10, vcc_lo
	v_add_co_u32 v11, s2, v6, 2
	s_delay_alu instid0(VALU_DEP_1) | instskip(SKIP_3) | instid1(VALU_DEP_3)
	v_add_co_ci_u32_e64 v12, s2, 0, v9, s2
	v_sub_co_u32 v13, s2, v3, s24
	v_sub_co_ci_u32_e32 v4, vcc_lo, v8, v4, vcc_lo
	v_subrev_co_ci_u32_e64 v10, s2, 0, v10, s2
	v_cmp_le_u32_e32 vcc_lo, s24, v13
	s_delay_alu instid0(VALU_DEP_3) | instskip(SKIP_1) | instid1(VALU_DEP_4)
	v_cmp_eq_u32_e64 s2, s25, v4
	v_cndmask_b32_e64 v13, 0, -1, vcc_lo
	v_cmp_le_u32_e32 vcc_lo, s25, v10
	v_cndmask_b32_e64 v14, 0, -1, vcc_lo
	v_cmp_le_u32_e32 vcc_lo, s24, v3
	;; [unrolled: 2-line block ×3, first 2 shown]
	v_cndmask_b32_e64 v15, 0, -1, vcc_lo
	v_cmp_eq_u32_e32 vcc_lo, s25, v10
	s_delay_alu instid0(VALU_DEP_2) | instskip(SKIP_3) | instid1(VALU_DEP_3)
	v_cndmask_b32_e64 v3, v15, v3, s2
	v_cndmask_b32_e32 v10, v14, v13, vcc_lo
	v_add_co_u32 v13, vcc_lo, v6, 1
	v_add_co_ci_u32_e32 v14, vcc_lo, 0, v9, vcc_lo
	v_cmp_ne_u32_e32 vcc_lo, 0, v10
	s_delay_alu instid0(VALU_DEP_2) | instskip(NEXT) | instid1(VALU_DEP_4)
	v_cndmask_b32_e32 v4, v14, v12, vcc_lo
	v_cndmask_b32_e32 v10, v13, v11, vcc_lo
	v_cmp_ne_u32_e32 vcc_lo, 0, v3
	s_delay_alu instid0(VALU_DEP_2)
	v_dual_cndmask_b32 v4, v9, v4 :: v_dual_cndmask_b32 v3, v6, v10
.LBB0_4:                                ;   in Loop: Header=BB0_2 Depth=1
	s_and_not1_saveexec_b32 s2, s3
	s_cbranch_execz .LBB0_6
; %bb.5:                                ;   in Loop: Header=BB0_2 Depth=1
	v_cvt_f32_u32_e32 v3, s24
	s_sub_i32 s3, 0, s24
	s_delay_alu instid0(VALU_DEP_1) | instskip(SKIP_2) | instid1(VALU_DEP_1)
	v_rcp_iflag_f32_e32 v3, v3
	s_waitcnt_depctr 0xfff
	v_mul_f32_e32 v3, 0x4f7ffffe, v3
	v_cvt_u32_f32_e32 v3, v3
	s_delay_alu instid0(VALU_DEP_1) | instskip(NEXT) | instid1(VALU_DEP_1)
	v_mul_lo_u32 v4, s3, v3
	v_mul_hi_u32 v4, v3, v4
	s_delay_alu instid0(VALU_DEP_1) | instskip(NEXT) | instid1(VALU_DEP_1)
	v_add_nc_u32_e32 v3, v3, v4
	v_mul_hi_u32 v3, v7, v3
	s_delay_alu instid0(VALU_DEP_1) | instskip(SKIP_1) | instid1(VALU_DEP_2)
	v_mul_lo_u32 v4, v3, s24
	v_add_nc_u32_e32 v6, 1, v3
	v_sub_nc_u32_e32 v4, v7, v4
	s_delay_alu instid0(VALU_DEP_1) | instskip(SKIP_1) | instid1(VALU_DEP_2)
	v_subrev_nc_u32_e32 v9, s24, v4
	v_cmp_le_u32_e32 vcc_lo, s24, v4
	v_dual_cndmask_b32 v4, v4, v9 :: v_dual_cndmask_b32 v3, v3, v6
	s_delay_alu instid0(VALU_DEP_1) | instskip(SKIP_1) | instid1(VALU_DEP_3)
	v_cmp_le_u32_e32 vcc_lo, s24, v4
	v_mov_b32_e32 v4, v5
	v_add_nc_u32_e32 v6, 1, v3
	s_delay_alu instid0(VALU_DEP_1)
	v_cndmask_b32_e32 v3, v3, v6, vcc_lo
.LBB0_6:                                ;   in Loop: Header=BB0_2 Depth=1
	s_or_b32 exec_lo, exec_lo, s2
	s_delay_alu instid0(VALU_DEP_1) | instskip(NEXT) | instid1(VALU_DEP_2)
	v_mul_lo_u32 v6, v4, s24
	v_mul_lo_u32 v11, v3, s25
	s_load_b64 s[2:3], s[14:15], 0x0
	v_mad_u64_u32 v[9:10], null, v3, s24, 0
	s_load_b64 s[24:25], s[12:13], 0x0
	s_add_u32 s22, s22, 1
	s_addc_u32 s23, s23, 0
	s_add_u32 s12, s12, 8
	s_addc_u32 s13, s13, 0
	s_add_u32 s14, s14, 8
	s_delay_alu instid0(VALU_DEP_1) | instskip(SKIP_3) | instid1(VALU_DEP_2)
	v_add3_u32 v6, v10, v11, v6
	v_sub_co_u32 v10, vcc_lo, v7, v9
	s_addc_u32 s15, s15, 0
	s_add_u32 s20, s20, 8
	v_sub_co_ci_u32_e32 v8, vcc_lo, v8, v6, vcc_lo
	s_addc_u32 s21, s21, 0
	s_waitcnt lgkmcnt(0)
	s_delay_alu instid0(VALU_DEP_1)
	v_mul_lo_u32 v11, s2, v8
	v_mul_lo_u32 v12, s3, v10
	v_mad_u64_u32 v[6:7], null, s2, v10, v[32:33]
	v_mul_lo_u32 v13, s24, v8
	v_mul_lo_u32 v14, s25, v10
	v_mad_u64_u32 v[8:9], null, s24, v10, v[1:2]
	v_cmp_ge_u64_e64 s2, s[22:23], s[10:11]
	v_add3_u32 v33, v12, v7, v11
	s_delay_alu instid0(VALU_DEP_3) | instskip(NEXT) | instid1(VALU_DEP_4)
	v_dual_mov_b32 v32, v6 :: v_dual_mov_b32 v1, v8
	v_add3_u32 v2, v14, v9, v13
	s_delay_alu instid0(VALU_DEP_4)
	s_and_b32 vcc_lo, exec_lo, s2
	s_cbranch_vccnz .LBB0_8
; %bb.7:                                ;   in Loop: Header=BB0_2 Depth=1
	v_dual_mov_b32 v8, v4 :: v_dual_mov_b32 v7, v3
	s_branch .LBB0_2
.LBB0_8:
	s_load_b64 s[0:1], s[0:1], 0x28
	v_mul_hi_u32 v5, 0x33333334, v0
	s_lshl_b64 s[10:11], s[10:11], 3
                                        ; implicit-def: $vgpr70
                                        ; implicit-def: $vgpr71
                                        ; implicit-def: $vgpr72
	s_delay_alu instid0(SALU_CYCLE_1) | instskip(SKIP_4) | instid1(VALU_DEP_1)
	s_add_u32 s2, s18, s10
	s_addc_u32 s3, s19, s11
	s_waitcnt lgkmcnt(0)
	v_cmp_gt_u64_e32 vcc_lo, s[0:1], v[3:4]
	v_cmp_le_u64_e64 s0, s[0:1], v[3:4]
	s_and_saveexec_b32 s1, s0
	s_delay_alu instid0(SALU_CYCLE_1)
	s_xor_b32 s0, exec_lo, s1
; %bb.9:
	v_mul_u32_u24_e32 v5, 5, v5
                                        ; implicit-def: $vgpr32_vgpr33
	s_delay_alu instid0(VALU_DEP_1) | instskip(NEXT) | instid1(VALU_DEP_1)
	v_sub_nc_u32_e32 v70, v0, v5
                                        ; implicit-def: $vgpr5
                                        ; implicit-def: $vgpr0
	v_or_b32_e32 v71, 40, v70
	v_or_b32_e32 v72, 0x50, v70
; %bb.10:
	s_or_saveexec_b32 s1, s0
                                        ; implicit-def: $vgpr10
                                        ; implicit-def: $vgpr24
                                        ; implicit-def: $vgpr12
                                        ; implicit-def: $vgpr22
                                        ; implicit-def: $vgpr14
                                        ; implicit-def: $vgpr20
                                        ; implicit-def: $vgpr16
                                        ; implicit-def: $vgpr18
                                        ; implicit-def: $vgpr8
                                        ; implicit-def: $vgpr6
                                        ; implicit-def: $vgpr43
                                        ; implicit-def: $vgpr65
                                        ; implicit-def: $vgpr45
                                        ; implicit-def: $vgpr63
                                        ; implicit-def: $vgpr37
                                        ; implicit-def: $vgpr61
                                        ; implicit-def: $vgpr47
                                        ; implicit-def: $vgpr59
                                        ; implicit-def: $vgpr29
                                        ; implicit-def: $vgpr26
                                        ; implicit-def: $vgpr34
                                        ; implicit-def: $vgpr57
                                        ; implicit-def: $vgpr51
                                        ; implicit-def: $vgpr69
                                        ; implicit-def: $vgpr49
                                        ; implicit-def: $vgpr55
                                        ; implicit-def: $vgpr53
                                        ; implicit-def: $vgpr67
                                        ; implicit-def: $vgpr31
                                        ; implicit-def: $vgpr40
	s_delay_alu instid0(SALU_CYCLE_1)
	s_xor_b32 exec_lo, exec_lo, s1
	s_cbranch_execz .LBB0_12
; %bb.11:
	s_add_u32 s10, s16, s10
	s_addc_u32 s11, s17, s11
	s_load_b64 s[10:11], s[10:11], 0x0
	s_waitcnt lgkmcnt(0)
	v_mul_lo_u32 v8, s11, v3
	v_mul_lo_u32 v9, s10, v4
	v_mad_u64_u32 v[6:7], null, s10, v3, 0
	s_delay_alu instid0(VALU_DEP_1) | instskip(SKIP_1) | instid1(VALU_DEP_2)
	v_add3_u32 v7, v7, v9, v8
	v_mul_u32_u24_e32 v9, 5, v5
	v_lshlrev_b64 v[5:6], 3, v[6:7]
	v_lshlrev_b64 v[7:8], 3, v[32:33]
	s_delay_alu instid0(VALU_DEP_3) | instskip(NEXT) | instid1(VALU_DEP_3)
	v_sub_nc_u32_e32 v70, v0, v9
	v_add_co_u32 v0, s0, s4, v5
	s_delay_alu instid0(VALU_DEP_1) | instskip(NEXT) | instid1(VALU_DEP_3)
	v_add_co_ci_u32_e64 v5, s0, s5, v6, s0
	v_lshlrev_b32_e32 v6, 3, v70
	s_delay_alu instid0(VALU_DEP_3) | instskip(NEXT) | instid1(VALU_DEP_1)
	v_add_co_u32 v0, s0, v0, v7
	v_add_co_ci_u32_e64 v5, s0, v5, v8, s0
	v_or_b32_e32 v72, 0x50, v70
	s_delay_alu instid0(VALU_DEP_3) | instskip(NEXT) | instid1(VALU_DEP_1)
	v_add_co_u32 v9, s0, v0, v6
	v_add_co_ci_u32_e64 v10, s0, 0, v5, s0
	v_or_b32_e32 v71, 40, v70
	s_clause 0x1d
	global_load_b64 v[39:40], v[9:10], off
	global_load_b64 v[25:26], v[9:10], off offset:40
	global_load_b64 v[28:29], v[9:10], off offset:160
	global_load_b64 v[58:59], v[9:10], off offset:280
	global_load_b64 v[54:55], v[9:10], off offset:480
	global_load_b64 v[60:61], v[9:10], off offset:520
	global_load_b64 v[36:37], v[9:10], off offset:640
	global_load_b64 v[62:63], v[9:10], off offset:760
	global_load_b64 v[56:57], v[9:10], off offset:960
	global_load_b64 v[64:65], v[9:10], off offset:1000
	global_load_b64 v[30:31], v[9:10], off offset:120
	global_load_b64 v[5:6], v[9:10], off offset:80
	global_load_b64 v[66:67], v[9:10], off offset:240
	global_load_b64 v[7:8], v[9:10], off offset:200
	global_load_b64 v[46:47], v[9:10], off offset:400
	global_load_b64 v[15:16], v[9:10], off offset:440
	global_load_b64 v[52:53], v[9:10], off offset:360
	global_load_b64 v[17:18], v[9:10], off offset:320
	global_load_b64 v[48:49], v[9:10], off offset:600
	global_load_b64 v[19:20], v[9:10], off offset:560
	global_load_b64 v[68:69], v[9:10], off offset:720
	global_load_b64 v[13:14], v[9:10], off offset:680
	global_load_b64 v[44:45], v[9:10], off offset:880
	global_load_b64 v[11:12], v[9:10], off offset:920
	global_load_b64 v[50:51], v[9:10], off offset:840
	global_load_b64 v[21:22], v[9:10], off offset:800
	global_load_b64 v[33:34], v[9:10], off offset:1080
	global_load_b64 v[23:24], v[9:10], off offset:1040
	global_load_b64 v[42:43], v[9:10], off offset:1120
	global_load_b64 v[9:10], v[9:10], off offset:1160
.LBB0_12:
	s_or_b32 exec_lo, exec_lo, s1
	v_mul_hi_u32 v0, 0xaaaaaaab, v27
	s_waitcnt vmcnt(9)
	v_dual_add_f32 v32, v66, v39 :: v_dual_add_f32 v35, v68, v54
	v_dual_sub_f32 v38, v67, v57 :: v_dual_sub_f32 v73, v66, v54
	v_dual_sub_f32 v41, v55, v69 :: v_dual_sub_f32 v74, v56, v68
	s_delay_alu instid0(VALU_DEP_3) | instskip(SKIP_2) | instid1(VALU_DEP_4)
	v_dual_add_f32 v75, v56, v66 :: v_dual_add_f32 v32, v54, v32
	v_lshrrev_b32_e32 v0, 3, v0
	v_fma_f32 v35, -0.5, v35, v39
	v_add_f32_e32 v73, v74, v73
	v_dual_sub_f32 v76, v54, v66 :: v_dual_sub_f32 v77, v68, v56
	s_delay_alu instid0(VALU_DEP_4) | instskip(NEXT) | instid1(VALU_DEP_4)
	v_mul_lo_u32 v0, v0, 12
	v_fmamk_f32 v78, v38, 0xbf737871, v35
	v_dual_fmac_f32 v39, -0.5, v75 :: v_dual_add_f32 v32, v68, v32
	v_fmac_f32_e32 v35, 0x3f737871, v38
	s_delay_alu instid0(VALU_DEP_3) | instskip(SKIP_1) | instid1(VALU_DEP_4)
	v_dual_add_f32 v75, v69, v55 :: v_dual_fmac_f32 v78, 0xbf167918, v41
	v_add_f32_e32 v76, v77, v76
	v_add_f32_e32 v74, v56, v32
	v_sub_nc_u32_e32 v0, v27, v0
	v_dual_fmamk_f32 v27, v41, 0x3f737871, v39 :: v_dual_add_f32 v32, v67, v40
	v_fmac_f32_e32 v35, 0x3f167918, v41
	v_dual_fmac_f32 v39, 0xbf737871, v41 :: v_dual_sub_f32 v56, v66, v56
	s_delay_alu instid0(VALU_DEP_3) | instskip(SKIP_1) | instid1(VALU_DEP_4)
	v_dual_fmac_f32 v27, 0xbf167918, v38 :: v_dual_add_f32 v32, v55, v32
	v_fma_f32 v41, -0.5, v75, v40
	v_fmac_f32_e32 v35, 0x3e9e377a, v73
	s_delay_alu instid0(VALU_DEP_4) | instskip(NEXT) | instid1(VALU_DEP_4)
	v_dual_fmac_f32 v39, 0x3f167918, v38 :: v_dual_add_f32 v66, v57, v67
	v_add_f32_e32 v32, v69, v32
	v_dual_fmac_f32 v78, 0x3e9e377a, v73 :: v_dual_fmac_f32 v27, 0x3e9e377a, v76
	v_dual_fmamk_f32 v38, v56, 0x3f737871, v41 :: v_dual_sub_f32 v73, v57, v69
	v_sub_f32_e32 v54, v54, v68
	v_dual_sub_f32 v68, v67, v55 :: v_dual_fmac_f32 v39, 0x3e9e377a, v76
	v_dual_fmac_f32 v40, -0.5, v66 :: v_dual_fmac_f32 v41, 0xbf737871, v56
	v_dual_add_f32 v66, v57, v32 :: v_dual_sub_f32 v55, v55, v67
	v_add_f32_e32 v67, v52, v30
	v_dual_fmac_f32 v38, 0x3f167918, v54 :: v_dual_sub_f32 v57, v69, v57
	s_delay_alu instid0(VALU_DEP_4) | instskip(SKIP_3) | instid1(VALU_DEP_4)
	v_dual_add_f32 v32, v73, v68 :: v_dual_fmac_f32 v41, 0xbf167918, v54
	v_fmamk_f32 v68, v54, 0xbf737871, v40
	v_fmac_f32_e32 v40, 0x3f737871, v54
	v_add_f32_e32 v54, v48, v67
	v_dual_fmac_f32 v38, 0x3e9e377a, v32 :: v_dual_add_f32 v55, v57, v55
	s_waitcnt vmcnt(3)
	v_dual_fmac_f32 v68, 0x3f167918, v56 :: v_dual_sub_f32 v69, v33, v50
	v_add_f32_e32 v57, v50, v48
	v_dual_fmac_f32 v41, 0x3e9e377a, v32 :: v_dual_add_f32 v32, v50, v54
	v_sub_f32_e32 v67, v52, v48
	v_fmac_f32_e32 v40, 0xbf167918, v56
	v_fmac_f32_e32 v68, 0x3e9e377a, v55
	v_fma_f32 v56, -0.5, v57, v30
	v_sub_f32_e32 v57, v53, v34
	v_add_f32_e32 v67, v69, v67
	v_dual_fmac_f32 v40, 0x3e9e377a, v55 :: v_dual_sub_f32 v75, v48, v52
	v_add_f32_e32 v55, v33, v32
	v_sub_f32_e32 v32, v49, v51
	v_add_f32_e32 v54, v33, v52
	v_sub_f32_e32 v76, v50, v33
	v_sub_f32_e32 v48, v48, v50
	v_dual_sub_f32 v33, v52, v33 :: v_dual_add_f32 v52, v53, v31
	s_delay_alu instid0(VALU_DEP_3) | instskip(SKIP_2) | instid1(VALU_DEP_3)
	v_dual_fmac_f32 v30, -0.5, v54 :: v_dual_add_f32 v69, v76, v75
	v_fmamk_f32 v54, v57, 0xbf737871, v56
	v_fmac_f32_e32 v56, 0x3f737871, v57
	v_dual_sub_f32 v50, v53, v49 :: v_dual_fmamk_f32 v73, v32, 0x3f737871, v30
	v_sub_f32_e32 v75, v51, v34
	v_mul_u32_u24_e32 v0, 0x96, v0
	s_load_b64 s[2:3], s[2:3], 0x0
	s_delay_alu instid0(VALU_DEP_3) | instskip(SKIP_1) | instid1(VALU_DEP_2)
	v_fmac_f32_e32 v73, 0xbf167918, v57
	v_fmac_f32_e32 v30, 0xbf737871, v32
	v_dual_fmac_f32 v73, 0x3e9e377a, v69 :: v_dual_lshlrev_b32 v0, 2, v0
	s_delay_alu instid0(VALU_DEP_2) | instskip(SKIP_3) | instid1(VALU_DEP_4)
	v_fmac_f32_e32 v30, 0x3f167918, v57
	v_dual_add_f32 v57, v34, v53 :: v_dual_fmac_f32 v54, 0xbf167918, v32
	v_fmac_f32_e32 v56, 0x3f167918, v32
	v_add_f32_e32 v32, v51, v49
	v_fmac_f32_e32 v30, 0x3e9e377a, v69
	s_delay_alu instid0(VALU_DEP_4) | instskip(NEXT) | instid1(VALU_DEP_3)
	v_dual_sub_f32 v53, v49, v53 :: v_dual_fmac_f32 v54, 0x3e9e377a, v67
	v_fma_f32 v32, -0.5, v32, v31
	v_dual_fmac_f32 v31, -0.5, v57 :: v_dual_fmac_f32 v56, 0x3e9e377a, v67
	v_sub_f32_e32 v67, v34, v51
	s_delay_alu instid0(VALU_DEP_3) | instskip(NEXT) | instid1(VALU_DEP_3)
	v_fmamk_f32 v57, v33, 0x3f737871, v32
	v_dual_fmamk_f32 v69, v48, 0xbf737871, v31 :: v_dual_fmac_f32 v32, 0xbf737871, v33
	s_delay_alu instid0(VALU_DEP_1) | instskip(SKIP_1) | instid1(VALU_DEP_4)
	v_fmac_f32_e32 v69, 0x3f167918, v33
	v_fmac_f32_e32 v31, 0x3f737871, v48
	v_dual_fmac_f32 v57, 0x3f167918, v48 :: v_dual_add_f32 v50, v67, v50
	s_delay_alu instid0(VALU_DEP_2) | instskip(SKIP_1) | instid1(VALU_DEP_3)
	v_fmac_f32_e32 v31, 0xbf167918, v33
	v_add_f32_e32 v33, v49, v52
	v_fmac_f32_e32 v57, 0x3e9e377a, v50
	s_delay_alu instid0(VALU_DEP_1) | instskip(NEXT) | instid1(VALU_DEP_1)
	v_mul_f32_e32 v52, 0xbf167918, v57
	v_dual_add_f32 v33, v51, v33 :: v_dual_fmac_f32 v52, 0x3f4f1bbd, v54
	s_delay_alu instid0(VALU_DEP_1) | instskip(SKIP_1) | instid1(VALU_DEP_1)
	v_add_f32_e32 v49, v78, v52
	v_dual_add_f32 v53, v75, v53 :: v_dual_fmac_f32 v32, 0xbf167918, v48
	v_dual_add_f32 v48, v55, v74 :: v_dual_fmac_f32 v69, 0x3e9e377a, v53
	s_delay_alu instid0(VALU_DEP_2) | instskip(SKIP_1) | instid1(VALU_DEP_2)
	v_dual_fmac_f32 v32, 0x3e9e377a, v50 :: v_dual_add_f32 v75, v34, v33
	v_fmac_f32_e32 v31, 0x3e9e377a, v53
	v_mul_f32_e32 v76, 0xbf167918, v32
	v_mul_f32_e32 v80, 0xbf4f1bbd, v32
	;; [unrolled: 1-line block ×3, first 2 shown]
	s_delay_alu instid0(VALU_DEP_4) | instskip(SKIP_4) | instid1(VALU_DEP_4)
	v_mul_f32_e32 v67, 0xbf737871, v31
	v_mul_f32_e32 v79, 0xbe9e377a, v31
	v_fmac_f32_e32 v76, 0xbf4f1bbd, v56
	v_mul_f32_e32 v53, 0xbf737871, v69
	v_fmac_f32_e32 v80, 0x3f167918, v56
	v_dual_sub_f32 v56, v78, v52 :: v_dual_fmac_f32 v79, 0x3f737871, v30
	s_delay_alu instid0(VALU_DEP_3) | instskip(NEXT) | instid1(VALU_DEP_3)
	v_dual_add_f32 v54, v35, v76 :: v_dual_fmac_f32 v53, 0x3e9e377a, v73
	v_dual_mul_f32 v73, 0x3f737871, v73 :: v_dual_add_f32 v34, v41, v80
	v_dual_add_f32 v78, v63, v61 :: v_dual_sub_f32 v41, v41, v80
	s_delay_alu instid0(VALU_DEP_2) | instskip(SKIP_3) | instid1(VALU_DEP_4)
	v_fmac_f32_e32 v73, 0x3e9e377a, v69
	v_fmac_f32_e32 v67, 0xbe9e377a, v30
	v_add_f32_e32 v30, v75, v66
	v_dual_add_f32 v50, v27, v53 :: v_dual_add_f32 v69, v62, v60
	v_add_f32_e32 v32, v68, v73
	s_delay_alu instid0(VALU_DEP_4) | instskip(SKIP_2) | instid1(VALU_DEP_3)
	v_dual_fmac_f32 v77, 0x3f4f1bbd, v57 :: v_dual_sub_f32 v52, v39, v67
	v_add_f32_e32 v51, v39, v67
	v_dual_sub_f32 v39, v68, v73 :: v_dual_sub_f32 v68, v61, v63
	v_add_f32_e32 v31, v38, v77
	v_sub_f32_e32 v38, v38, v77
	v_sub_f32_e32 v57, v27, v53
	v_add_f32_e32 v27, v58, v25
	v_fma_f32 v67, -0.5, v69, v25
	v_sub_f32_e32 v69, v59, v65
	v_add_f32_e32 v77, v59, v26
	v_sub_f32_e32 v73, v58, v60
	v_add_f32_e32 v27, v60, v27
	v_add_f32_e32 v33, v40, v79
	v_sub_f32_e32 v40, v40, v79
	s_delay_alu instid0(VALU_DEP_3) | instskip(SKIP_3) | instid1(VALU_DEP_1)
	v_add_f32_e32 v27, v62, v27
	v_sub_f32_e32 v53, v35, v76
	v_sub_f32_e32 v76, v62, v64
	v_dual_sub_f32 v55, v74, v55 :: v_dual_sub_f32 v74, v64, v62
	v_add_f32_e32 v73, v74, v73
	v_sub_f32_e32 v35, v66, v75
	v_add_f32_e32 v75, v64, v58
	v_add_f32_e32 v74, v64, v27
	v_dual_sub_f32 v27, v60, v58 :: v_dual_fmamk_f32 v66, v69, 0xbf737871, v67
	v_dual_fmac_f32 v67, 0x3f737871, v69 :: v_dual_sub_f32 v58, v58, v64
	v_sub_f32_e32 v60, v60, v62
	s_delay_alu instid0(VALU_DEP_3) | instskip(SKIP_3) | instid1(VALU_DEP_2)
	v_add_f32_e32 v27, v76, v27
	v_fma_f32 v76, -0.5, v78, v26
	v_dual_fmac_f32 v25, -0.5, v75 :: v_dual_fmac_f32 v66, 0xbf167918, v68
	v_dual_fmac_f32 v67, 0x3f167918, v68 :: v_dual_sub_f32 v62, v59, v61
	v_fmamk_f32 v75, v68, 0x3f737871, v25
	v_dual_fmac_f32 v25, 0xbf737871, v68 :: v_dual_add_f32 v68, v61, v77
	s_waitcnt vmcnt(1)
	v_sub_f32_e32 v77, v44, v42
	s_delay_alu instid0(VALU_DEP_3) | instskip(NEXT) | instid1(VALU_DEP_3)
	v_fmac_f32_e32 v75, 0xbf167918, v69
	v_dual_fmac_f32 v25, 0x3f167918, v69 :: v_dual_add_f32 v64, v63, v68
	v_dual_fmamk_f32 v68, v58, 0x3f737871, v76 :: v_dual_add_f32 v69, v65, v59
	v_dual_fmac_f32 v76, 0xbf737871, v58 :: v_dual_sub_f32 v59, v61, v59
	s_delay_alu instid0(VALU_DEP_2) | instskip(SKIP_1) | instid1(VALU_DEP_4)
	v_dual_sub_f32 v61, v63, v65 :: v_dual_fmac_f32 v68, 0x3f167918, v60
	v_fmac_f32_e32 v66, 0x3e9e377a, v73
	v_fmac_f32_e32 v26, -0.5, v69
	s_delay_alu instid0(VALU_DEP_4)
	v_fmac_f32_e32 v76, 0xbf167918, v60
	v_fmac_f32_e32 v67, 0x3e9e377a, v73
	v_sub_f32_e32 v73, v65, v63
	v_fmac_f32_e32 v75, 0x3e9e377a, v27
	v_add_f32_e32 v59, v61, v59
	v_add_f32_e32 v61, v44, v36
	v_sub_f32_e32 v63, v42, v44
	v_fmac_f32_e32 v25, 0x3e9e377a, v27
	v_add_f32_e32 v27, v73, v62
	v_dual_fmamk_f32 v73, v60, 0xbf737871, v26 :: v_dual_add_f32 v62, v46, v28
	v_fmac_f32_e32 v26, 0x3f737871, v60
	s_delay_alu instid0(VALU_DEP_2) | instskip(NEXT) | instid1(VALU_DEP_3)
	v_fmac_f32_e32 v73, 0x3f167918, v58
	v_add_f32_e32 v60, v36, v62
	s_delay_alu instid0(VALU_DEP_3)
	v_fmac_f32_e32 v26, 0xbf167918, v58
	v_fma_f32 v58, -0.5, v61, v28
	v_sub_f32_e32 v61, v47, v43
	v_add_f32_e32 v69, v65, v64
	v_fmac_f32_e32 v73, 0x3e9e377a, v59
	v_dual_fmac_f32 v26, 0x3e9e377a, v59 :: v_dual_sub_f32 v65, v36, v46
	s_delay_alu instid0(VALU_DEP_4) | instskip(SKIP_4) | instid1(VALU_DEP_2)
	v_fmamk_f32 v59, v61, 0xbf737871, v58
	v_fmac_f32_e32 v58, 0x3f737871, v61
	v_fmac_f32_e32 v68, 0x3e9e377a, v27
	v_dual_fmac_f32 v76, 0x3e9e377a, v27 :: v_dual_add_f32 v27, v44, v60
	v_add_f32_e32 v60, v42, v46
	v_dual_add_f32 v62, v42, v27 :: v_dual_sub_f32 v27, v37, v45
	s_delay_alu instid0(VALU_DEP_2)
	v_fmac_f32_e32 v28, -0.5, v60
	v_sub_f32_e32 v60, v46, v36
	v_sub_f32_e32 v36, v36, v44
	;; [unrolled: 1-line block ×3, first 2 shown]
	v_fmac_f32_e32 v58, 0x3f167918, v27
	v_fmamk_f32 v64, v27, 0x3f737871, v28
	v_fmac_f32_e32 v28, 0xbf737871, v27
	v_add_f32_e32 v60, v63, v60
	v_add_f32_e32 v46, v47, v29
	s_delay_alu instid0(VALU_DEP_4) | instskip(NEXT) | instid1(VALU_DEP_4)
	v_fmac_f32_e32 v64, 0xbf167918, v61
	v_fmac_f32_e32 v28, 0x3f167918, v61
	v_sub_f32_e32 v61, v43, v45
	v_fmac_f32_e32 v59, 0xbf167918, v27
	v_dual_add_f32 v27, v45, v37 :: v_dual_fmac_f32 v58, 0x3e9e377a, v60
	s_delay_alu instid0(VALU_DEP_2) | instskip(NEXT) | instid1(VALU_DEP_2)
	v_dual_fmac_f32 v59, 0x3e9e377a, v60 :: v_dual_add_f32 v60, v43, v47
	v_fma_f32 v27, -0.5, v27, v29
	s_delay_alu instid0(VALU_DEP_2) | instskip(NEXT) | instid1(VALU_DEP_2)
	v_fmac_f32_e32 v29, -0.5, v60
	v_fmamk_f32 v44, v42, 0x3f737871, v27
	v_dual_sub_f32 v60, v47, v37 :: v_dual_fmac_f32 v27, 0xbf737871, v42
	s_delay_alu instid0(VALU_DEP_2) | instskip(NEXT) | instid1(VALU_DEP_2)
	v_dual_add_f32 v63, v77, v65 :: v_dual_fmac_f32 v44, 0x3f167918, v36
	v_add_f32_e32 v60, v61, v60
	s_delay_alu instid0(VALU_DEP_3) | instskip(NEXT) | instid1(VALU_DEP_3)
	v_fmac_f32_e32 v27, 0xbf167918, v36
	v_fmac_f32_e32 v64, 0x3e9e377a, v63
	;; [unrolled: 1-line block ×3, first 2 shown]
	s_delay_alu instid0(VALU_DEP_4) | instskip(NEXT) | instid1(VALU_DEP_4)
	v_dual_sub_f32 v65, v45, v43 :: v_dual_fmac_f32 v44, 0x3e9e377a, v60
	v_fmac_f32_e32 v27, 0x3e9e377a, v60
	s_delay_alu instid0(VALU_DEP_4) | instskip(NEXT) | instid1(VALU_DEP_2)
	v_mul_f32_e32 v80, 0x3f737871, v64
	v_mul_f32_e32 v78, 0xbf167918, v27
	v_fmamk_f32 v63, v36, 0xbf737871, v29
	v_sub_f32_e32 v47, v37, v47
	v_mul_f32_e32 v81, 0xbf4f1bbd, v27
	v_fmac_f32_e32 v29, 0x3f737871, v36
	v_fmac_f32_e32 v78, 0xbf4f1bbd, v58
	v_fmac_f32_e32 v63, 0x3f167918, v42
	s_delay_alu instid0(VALU_DEP_4) | instskip(SKIP_1) | instid1(VALU_DEP_2)
	v_fmac_f32_e32 v81, 0x3f167918, v58
	v_add_f32_e32 v47, v65, v47
	v_dual_add_f32 v27, v67, v78 :: v_dual_add_f32 v60, v76, v81
	s_delay_alu instid0(VALU_DEP_2) | instskip(NEXT) | instid1(VALU_DEP_1)
	v_fmac_f32_e32 v63, 0x3e9e377a, v47
	v_dual_add_f32 v37, v37, v46 :: v_dual_fmac_f32 v80, 0x3e9e377a, v63
	s_delay_alu instid0(VALU_DEP_1) | instskip(NEXT) | instid1(VALU_DEP_2)
	v_dual_add_f32 v36, v45, v37 :: v_dual_mul_f32 v79, 0x3f167918, v59
	v_add_f32_e32 v58, v73, v80
	s_delay_alu instid0(VALU_DEP_2) | instskip(NEXT) | instid1(VALU_DEP_3)
	v_add_f32_e32 v77, v43, v36
	v_dual_fmac_f32 v79, 0x3f4f1bbd, v44 :: v_dual_add_f32 v36, v62, v74
	s_delay_alu instid0(VALU_DEP_1) | instskip(NEXT) | instid1(VALU_DEP_1)
	v_dual_add_f32 v46, v68, v79 :: v_dual_fmac_f32 v29, 0xbf167918, v42
	v_fmac_f32_e32 v29, 0x3e9e377a, v47
	s_delay_alu instid0(VALU_DEP_1) | instskip(SKIP_1) | instid1(VALU_DEP_2)
	v_mul_f32_e32 v65, 0xbf737871, v29
	v_mul_f32_e32 v29, 0xbe9e377a, v29
	v_fmac_f32_e32 v65, 0xbe9e377a, v28
	s_delay_alu instid0(VALU_DEP_2) | instskip(SKIP_2) | instid1(VALU_DEP_4)
	v_dual_fmac_f32 v29, 0x3f737871, v28 :: v_dual_sub_f32 v28, v74, v62
	v_sub_f32_e32 v74, v17, v19
	v_mul_f32_e32 v61, 0xbf737871, v63
	v_add_f32_e32 v43, v25, v65
	s_delay_alu instid0(VALU_DEP_2)
	v_dual_fmac_f32 v61, 0x3e9e377a, v64 :: v_dual_sub_f32 v64, v25, v65
	v_add_f32_e32 v25, v17, v5
	v_dual_mul_f32 v47, 0xbf167918, v44 :: v_dual_add_f32 v44, v21, v19
	v_sub_f32_e32 v65, v67, v78
	v_sub_f32_e32 v67, v73, v80
	;; [unrolled: 1-line block ×3, first 2 shown]
	s_delay_alu instid0(VALU_DEP_4) | instskip(SKIP_2) | instid1(VALU_DEP_3)
	v_dual_fmac_f32 v47, 0x3f4f1bbd, v59 :: v_dual_add_f32 v78, v22, v20
	v_add_f32_e32 v59, v26, v29
	v_fma_f32 v44, -0.5, v44, v5
	v_add_f32_e32 v37, v66, v47
	v_sub_f32_e32 v62, v66, v47
	v_sub_f32_e32 v66, v68, v79
	v_add_f32_e32 v68, v19, v25
	v_sub_f32_e32 v25, v26, v29
	v_sub_f32_e32 v26, v76, v81
	;; [unrolled: 1-line block ×3, first 2 shown]
	v_add_f32_e32 v42, v75, v61
	v_sub_f32_e32 v63, v75, v61
	v_sub_f32_e32 v75, v23, v21
	;; [unrolled: 1-line block ×3, first 2 shown]
	v_add_f32_e32 v29, v21, v68
	s_delay_alu instid0(VALU_DEP_3) | instskip(SKIP_4) | instid1(VALU_DEP_4)
	v_dual_sub_f32 v61, v69, v77 :: v_dual_add_f32 v68, v75, v74
	v_sub_f32_e32 v75, v19, v17
	v_sub_f32_e32 v19, v19, v21
	;; [unrolled: 1-line block ×3, first 2 shown]
	v_add_f32_e32 v29, v23, v29
	v_add_f32_e32 v75, v76, v75
	;; [unrolled: 1-line block ×3, first 2 shown]
	v_fmamk_f32 v69, v47, 0xbf737871, v44
	v_dual_add_f32 v77, v23, v17 :: v_dual_fmac_f32 v44, 0x3f737871, v47
	v_fma_f32 v76, -0.5, v78, v6
	v_sub_f32_e32 v17, v17, v23
	s_delay_alu instid0(VALU_DEP_4) | instskip(NEXT) | instid1(VALU_DEP_4)
	v_fmac_f32_e32 v69, 0xbf167918, v73
	v_fmac_f32_e32 v5, -0.5, v77
	v_dual_fmac_f32 v44, 0x3f167918, v73 :: v_dual_add_f32 v77, v18, v6
	s_delay_alu instid0(VALU_DEP_3) | instskip(NEXT) | instid1(VALU_DEP_3)
	v_fmac_f32_e32 v69, 0x3e9e377a, v68
	v_fmamk_f32 v74, v73, 0x3f737871, v5
	v_fmac_f32_e32 v5, 0xbf737871, v73
	s_delay_alu instid0(VALU_DEP_4) | instskip(SKIP_3) | instid1(VALU_DEP_4)
	v_dual_add_f32 v73, v20, v77 :: v_dual_fmac_f32 v44, 0x3e9e377a, v68
	v_add_f32_e32 v68, v24, v18
	v_sub_f32_e32 v18, v20, v18
	v_sub_f32_e32 v20, v22, v24
	v_add_f32_e32 v23, v22, v73
	s_delay_alu instid0(VALU_DEP_4) | instskip(SKIP_1) | instid1(VALU_DEP_4)
	v_dual_sub_f32 v73, v24, v22 :: v_dual_fmac_f32 v6, -0.5, v68
	v_add_f32_e32 v22, v15, v7
	v_add_f32_e32 v18, v20, v18
	;; [unrolled: 1-line block ×3, first 2 shown]
	v_fmac_f32_e32 v74, 0xbf167918, v47
	v_fmac_f32_e32 v5, 0x3f167918, v47
	v_fmamk_f32 v47, v17, 0x3f737871, v76
	v_fmac_f32_e32 v76, 0xbf737871, v17
	v_dual_add_f32 v21, v73, v21 :: v_dual_add_f32 v68, v24, v23
	s_delay_alu instid0(VALU_DEP_4) | instskip(NEXT) | instid1(VALU_DEP_4)
	v_fmac_f32_e32 v5, 0x3e9e377a, v75
	v_fmac_f32_e32 v47, 0x3f167918, v19
	v_fmamk_f32 v73, v19, 0xbf737871, v6
	v_fmac_f32_e32 v76, 0xbf167918, v19
	v_dual_fmac_f32 v6, 0x3f737871, v19 :: v_dual_add_f32 v19, v13, v22
	s_delay_alu instid0(VALU_DEP_4) | instskip(NEXT) | instid1(VALU_DEP_4)
	v_fmac_f32_e32 v47, 0x3e9e377a, v21
	v_fmac_f32_e32 v73, 0x3f167918, v17
	s_delay_alu instid0(VALU_DEP_4) | instskip(NEXT) | instid1(VALU_DEP_4)
	v_fmac_f32_e32 v76, 0x3e9e377a, v21
	v_dual_fmac_f32 v6, 0xbf167918, v17 :: v_dual_add_f32 v17, v11, v19
	v_fma_f32 v19, -0.5, v20, v7
	s_waitcnt vmcnt(0)
	v_dual_add_f32 v20, v9, v15 :: v_dual_sub_f32 v21, v16, v10
	v_fmac_f32_e32 v73, 0x3e9e377a, v18
	v_fmac_f32_e32 v6, 0x3e9e377a, v18
	v_sub_f32_e32 v18, v14, v12
	s_delay_alu instid0(VALU_DEP_4)
	v_fmac_f32_e32 v7, -0.5, v20
	v_fmamk_f32 v20, v21, 0xbf737871, v19
	v_fmac_f32_e32 v19, 0x3f737871, v21
	v_add_f32_e32 v17, v9, v17
	v_dual_sub_f32 v22, v15, v13 :: v_dual_sub_f32 v23, v9, v11
	v_fmamk_f32 v24, v18, 0x3f737871, v7
	v_fmac_f32_e32 v20, 0xbf167918, v18
	v_fmac_f32_e32 v19, 0x3f167918, v18
	;; [unrolled: 1-line block ×3, first 2 shown]
	v_add_f32_e32 v18, v12, v14
	v_dual_fmac_f32 v74, 0x3e9e377a, v75 :: v_dual_sub_f32 v77, v11, v9
	v_add_f32_e32 v22, v23, v22
	v_fmac_f32_e32 v24, 0xbf167918, v21
	v_fmac_f32_e32 v7, 0x3f167918, v21
	v_add_f32_e32 v21, v10, v16
	v_fma_f32 v18, -0.5, v18, v8
	v_sub_f32_e32 v9, v15, v9
	v_dual_sub_f32 v75, v13, v15 :: v_dual_fmac_f32 v20, 0x3e9e377a, v22
	v_fmac_f32_e32 v19, 0x3e9e377a, v22
	v_add_f32_e32 v15, v16, v8
	v_dual_sub_f32 v11, v13, v11 :: v_dual_fmac_f32 v8, -0.5, v21
	v_fmamk_f32 v21, v9, 0x3f737871, v18
	v_dual_sub_f32 v13, v16, v14 :: v_dual_sub_f32 v22, v10, v12
	v_sub_f32_e32 v16, v14, v16
	v_fmac_f32_e32 v18, 0xbf737871, v9
	s_delay_alu instid0(VALU_DEP_4) | instskip(NEXT) | instid1(VALU_DEP_2)
	v_fmac_f32_e32 v21, 0x3f167918, v11
	v_dual_add_f32 v13, v22, v13 :: v_dual_fmac_f32 v18, 0xbf167918, v11
	s_delay_alu instid0(VALU_DEP_1) | instskip(NEXT) | instid1(VALU_DEP_2)
	v_fmac_f32_e32 v21, 0x3e9e377a, v13
	v_fmac_f32_e32 v18, 0x3e9e377a, v13
	s_delay_alu instid0(VALU_DEP_1) | instskip(SKIP_1) | instid1(VALU_DEP_2)
	v_dual_mul_f32 v22, 0xbf167918, v21 :: v_dual_mul_f32 v79, 0xbf167918, v18
	v_mul_f32_e32 v82, 0xbf4f1bbd, v18
	v_fmac_f32_e32 v22, 0x3f4f1bbd, v20
	v_mul_f32_e32 v20, 0x3f167918, v20
	s_delay_alu instid0(VALU_DEP_1) | instskip(NEXT) | instid1(VALU_DEP_1)
	v_dual_fmac_f32 v20, 0x3f4f1bbd, v21 :: v_dual_add_f32 v23, v77, v75
	v_dual_sub_f32 v75, v12, v10 :: v_dual_fmac_f32 v24, 0x3e9e377a, v23
	v_fmac_f32_e32 v7, 0x3e9e377a, v23
	v_fmamk_f32 v23, v11, 0xbf737871, v8
	v_fmac_f32_e32 v8, 0x3f737871, v11
	s_delay_alu instid0(VALU_DEP_4) | instskip(SKIP_1) | instid1(VALU_DEP_4)
	v_add_f32_e32 v16, v75, v16
	v_mul_f32_e32 v80, 0x3f737871, v24
	v_fmac_f32_e32 v23, 0x3f167918, v9
	s_delay_alu instid0(VALU_DEP_4) | instskip(NEXT) | instid1(VALU_DEP_2)
	v_dual_fmac_f32 v8, 0xbf167918, v9 :: v_dual_add_f32 v9, v14, v15
	v_fmac_f32_e32 v23, 0x3e9e377a, v16
	s_delay_alu instid0(VALU_DEP_2) | instskip(NEXT) | instid1(VALU_DEP_2)
	v_dual_fmac_f32 v8, 0x3e9e377a, v16 :: v_dual_add_f32 v9, v12, v9
	v_fmac_f32_e32 v80, 0x3e9e377a, v23
	s_delay_alu instid0(VALU_DEP_2) | instskip(SKIP_1) | instid1(VALU_DEP_2)
	v_dual_mul_f32 v77, 0xbf737871, v8 :: v_dual_add_f32 v78, v10, v9
	v_dual_add_f32 v16, v47, v20 :: v_dual_add_f32 v9, v17, v29
	v_dual_sub_f32 v14, v29, v17 :: v_dual_fmac_f32 v77, 0xbe9e377a, v7
	v_mul_u32_u24_e32 v29, 10, v70
	v_add_nc_u32_e32 v17, 0, v0
	v_mul_f32_e32 v81, 0xbe9e377a, v8
	s_delay_alu instid0(VALU_DEP_4) | instskip(SKIP_1) | instid1(VALU_DEP_4)
	v_dual_mul_f32 v75, 0xbf737871, v23 :: v_dual_add_f32 v12, v5, v77
	v_sub_f32_e32 v23, v5, v77
	v_lshl_add_u32 v29, v29, 2, v17
	v_lshlrev_b32_e32 v5, 2, v70
	v_fmac_f32_e32 v81, 0x3f737871, v7
	v_fmac_f32_e32 v75, 0x3e9e377a, v24
	ds_store_2addr_b64 v29, v[48:49], v[50:51] offset1:1
	ds_store_2addr_b64 v29, v[54:55], v[56:57] offset0:2 offset1:3
	ds_store_2addr_b64 v29, v[36:37], v[42:43] offset0:25 offset1:26
	;; [unrolled: 1-line block ×3, first 2 shown]
	v_dual_fmac_f32 v79, 0xbf4f1bbd, v19 :: v_dual_add_nc_u32 v42, v17, v5
	v_add_f32_e32 v10, v69, v22
	v_fmac_f32_e32 v82, 0x3f167918, v19
	v_dual_add_f32 v18, v73, v80 :: v_dual_add_f32 v19, v6, v81
	v_sub_f32_e32 v7, v69, v22
	v_sub_f32_e32 v69, v73, v80
	v_dual_sub_f32 v73, v6, v81 :: v_dual_mov_b32 v6, 0
	v_add_f32_e32 v11, v74, v75
	v_add_f32_e32 v13, v44, v79
	v_sub_f32_e32 v8, v74, v75
	v_sub_f32_e32 v24, v44, v79
	ds_store_2addr_b64 v29, v[52:53], v[64:65] offset0:4 offset1:29
	ds_store_2addr_b64 v29, v[9:10], v[11:12] offset0:50 offset1:51
	ds_store_2addr_b64 v29, v[13:14], v[7:8] offset0:52 offset1:53
	ds_store_b64 v29, v[23:24] offset:432
	v_lshlrev_b64 v[13:14], 3, v[5:6]
	v_add3_u32 v0, 0, v5, v0
	v_add_f32_e32 v15, v78, v68
	v_add_f32_e32 v21, v76, v82
	v_sub_f32_e32 v22, v68, v78
	v_sub_f32_e32 v68, v47, v20
	v_add_nc_u32_e32 v44, 5, v70
	v_lshl_add_u32 v43, v71, 2, v17
	v_sub_f32_e32 v74, v76, v82
	s_waitcnt lgkmcnt(0)
	s_barrier
	buffer_gl0_inv
	ds_load_2addr_b32 v[7:8], v0 offset0:25 offset1:30
	ds_load_2addr_b32 v[62:63], v0 offset0:60 offset1:65
	;; [unrolled: 1-line block ×5, first 2 shown]
	ds_load_b32 v20, v42
	ds_load_b32 v53, v43
	ds_load_2addr_b32 v[79:80], v0 offset0:70 offset1:75
	ds_load_2addr_b32 v[81:82], v0 offset0:100 offset1:105
	;; [unrolled: 1-line block ×9, first 2 shown]
	s_waitcnt lgkmcnt(0)
	s_barrier
	buffer_gl0_inv
	ds_store_2addr_b64 v29, v[30:31], v[32:33] offset1:1
	ds_store_2addr_b64 v29, v[34:35], v[38:39] offset0:2 offset1:3
	ds_store_2addr_b64 v29, v[45:46], v[58:59] offset0:25 offset1:26
	;; [unrolled: 1-line block ×6, first 2 shown]
	v_add_co_u32 v18, s0, s8, v13
	s_delay_alu instid0(VALU_DEP_1)
	v_add_co_ci_u32_e64 v19, s0, s9, v14, s0
	v_lshlrev_b32_e32 v5, 2, v44
	ds_store_b64 v29, v[73:74] offset:432
	s_waitcnt lgkmcnt(0)
	s_barrier
	buffer_gl0_inv
	global_load_b128 v[13:16], v[18:19], off offset:16
	v_lshlrev_b64 v[21:22], 3, v[5:6]
	v_add_nc_u32_e32 v38, 20, v70
	v_add_nc_u32_e32 v39, 25, v70
	s_delay_alu instid0(VALU_DEP_3) | instskip(NEXT) | instid1(VALU_DEP_1)
	v_add_co_u32 v30, s0, s8, v21
	v_add_co_ci_u32_e64 v31, s0, s9, v22, s0
	s_delay_alu instid0(VALU_DEP_4)
	v_and_b32_e32 v5, 0xff, v38
	s_clause 0x2
	global_load_b128 v[22:25], v[30:31], off offset:16
	global_load_b128 v[26:29], v[18:19], off
	global_load_b128 v[30:33], v[30:31], off
	v_mul_lo_u16 v5, 0xcd, v5
	v_and_b32_e32 v18, 0xff, v39
	s_delay_alu instid0(VALU_DEP_2) | instskip(NEXT) | instid1(VALU_DEP_2)
	v_lshrrev_b16 v5, 11, v5
	v_mul_lo_u16 v18, 0xcd, v18
	s_delay_alu instid0(VALU_DEP_2) | instskip(NEXT) | instid1(VALU_DEP_1)
	v_mul_lo_u16 v5, v5, 10
	v_sub_nc_u16 v5, v38, v5
	s_delay_alu instid0(VALU_DEP_1) | instskip(NEXT) | instid1(VALU_DEP_4)
	v_and_b32_e32 v21, 0xff, v5
	v_lshrrev_b16 v5, 11, v18
	s_delay_alu instid0(VALU_DEP_2) | instskip(NEXT) | instid1(VALU_DEP_2)
	v_lshlrev_b32_e32 v18, 5, v21
	v_mul_lo_u16 v5, v5, 10
	s_clause 0x1
	global_load_b128 v[34:37], v18, s[8:9]
	global_load_b128 v[45:48], v18, s[8:9] offset:16
	v_sub_nc_u16 v5, v39, v5
	s_delay_alu instid0(VALU_DEP_1) | instskip(NEXT) | instid1(VALU_DEP_1)
	v_and_b32_e32 v5, 0xff, v5
	v_lshlrev_b32_e32 v18, 5, v5
	s_clause 0x1
	global_load_b128 v[49:52], v18, s[8:9]
	global_load_b128 v[54:57], v18, s[8:9] offset:16
	ds_load_2addr_b32 v[18:19], v0 offset0:90 offset1:95
	ds_load_2addr_b32 v[40:41], v0 offset0:120 offset1:125
	;; [unrolled: 1-line block ×4, first 2 shown]
	s_waitcnt vmcnt(7) lgkmcnt(3)
	v_mul_f32_e32 v66, v18, v14
	v_mul_f32_e32 v67, v64, v14
	s_waitcnt lgkmcnt(1)
	v_dual_mul_f32 v68, v40, v16 :: v_dual_mul_f32 v69, v58, v14
	v_mul_f32_e32 v14, v81, v14
	v_fmac_f32_e32 v66, v64, v13
	v_fma_f32 v67, v18, v13, -v67
	v_mul_f32_e32 v18, v75, v16
	s_waitcnt lgkmcnt(0)
	v_mul_f32_e32 v73, v60, v16
	v_mul_f32_e32 v16, v83, v16
	v_dual_fmac_f32 v68, v75, v15 :: v_dual_fmac_f32 v69, v81, v13
	v_fma_f32 v74, v40, v15, -v18
	s_delay_alu instid0(VALU_DEP_4) | instskip(NEXT) | instid1(VALU_DEP_4)
	v_fmac_f32_e32 v73, v83, v15
	v_fma_f32 v81, v60, v15, -v16
	ds_load_2addr_b32 v[15:16], v0 offset0:60 offset1:65
	v_fma_f32 v75, v58, v13, -v14
	s_waitcnt vmcnt(6)
	v_mul_f32_e32 v13, v65, v23
	v_mul_f32_e32 v83, v19, v23
	;; [unrolled: 1-line block ×3, first 2 shown]
	s_waitcnt vmcnt(5)
	v_mul_f32_e32 v40, v62, v29
	v_fma_f32 v94, v19, v22, -v13
	v_mul_f32_e32 v13, v76, v25
	ds_load_2addr_b32 v[18:19], v0 offset0:35 offset1:45
	v_fmac_f32_e32 v83, v65, v22
	v_fma_f32 v95, v41, v24, -v13
	ds_load_2addr_b32 v[13:14], v0 offset0:25 offset1:30
	s_waitcnt lgkmcnt(2)
	v_fma_f32 v97, v15, v28, -v40
	v_dual_fmac_f32 v93, v76, v24 :: v_dual_mul_f32 v76, v59, v23
	v_dual_mul_f32 v23, v82, v23 :: v_dual_mul_f32 v58, v15, v29
	s_waitcnt vmcnt(4)
	v_mul_f32_e32 v96, v16, v33
	s_delay_alu instid0(VALU_DEP_3) | instskip(NEXT) | instid1(VALU_DEP_3)
	v_dual_mul_f32 v15, v63, v33 :: v_dual_fmac_f32 v76, v82, v22
	v_fma_f32 v59, v59, v22, -v23
	ds_load_2addr_b32 v[22:23], v0 offset0:70 offset1:75
	v_mul_f32_e32 v82, v61, v25
	v_dual_mul_f32 v25, v84, v25 :: v_dual_fmac_f32 v58, v62, v28
	s_waitcnt lgkmcnt(2)
	v_mul_f32_e32 v98, v18, v31
	v_fmac_f32_e32 v96, v63, v32
	v_fmac_f32_e32 v82, v84, v24
	v_fma_f32 v84, v61, v24, -v25
	ds_load_b32 v24, v43
	ds_load_2addr_b32 v[60:61], v0 offset0:50 offset1:55
	ds_load_2addr_b32 v[62:63], v0 offset0:110 offset1:115
	s_waitcnt lgkmcnt(4)
	v_mul_f32_e32 v104, v14, v27
	v_mul_f32_e32 v25, v77, v31
	v_fmac_f32_e32 v98, v77, v30
	v_fma_f32 v77, v16, v32, -v15
	s_delay_alu instid0(VALU_DEP_4) | instskip(SKIP_3) | instid1(VALU_DEP_4)
	v_dual_mul_f32 v15, v78, v31 :: v_dual_fmac_f32 v104, v8, v26
	v_mul_f32_e32 v99, v19, v31
	v_fma_f32 v100, v18, v30, -v25
	v_mul_f32_e32 v16, v80, v33
	v_fma_f32 v101, v19, v30, -v15
	s_waitcnt lgkmcnt(3)
	v_mul_f32_e32 v102, v22, v29
	v_fmac_f32_e32 v99, v78, v30
	ds_load_2addr_b32 v[30:31], v0 offset0:80 offset1:85
	v_mul_f32_e32 v15, v79, v29
	v_mul_f32_e32 v78, v23, v33
	v_fmac_f32_e32 v102, v79, v28
	ds_load_2addr_b32 v[64:65], v0 offset0:140 offset1:145
	ds_load_2addr_b32 v[18:19], v0 offset0:5 offset1:10
	v_fma_f32 v79, v22, v28, -v15
	v_mul_f32_e32 v15, v8, v27
	s_waitcnt vmcnt(3)
	v_mul_f32_e32 v8, v85, v35
	v_fmac_f32_e32 v78, v80, v32
	v_fma_f32 v80, v23, v32, -v16
	s_waitcnt vmcnt(2) lgkmcnt(3)
	v_dual_mul_f32 v41, v60, v35 :: v_dual_mul_f32 v40, v62, v46
	v_fma_f32 v32, v60, v34, -v8
	v_mul_f32_e32 v8, v89, v46
	v_fma_f32 v105, v14, v26, -v15
	s_delay_alu instid0(VALU_DEP_4)
	v_fmac_f32_e32 v41, v85, v34
	v_fmac_f32_e32 v40, v89, v45
	v_mul_f32_e32 v16, v53, v27
	v_fma_f32 v34, v62, v45, -v8
	ds_load_b32 v45, v42
	s_waitcnt lgkmcnt(3)
	v_mul_f32_e32 v35, v30, v37
	v_mul_f32_e32 v14, v87, v37
	s_waitcnt vmcnt(0)
	v_mul_f32_e32 v29, v63, v55
	v_mul_f32_e32 v23, v90, v55
	v_sub_f32_e32 v46, v97, v67
	v_dual_sub_f32 v37, v105, v74 :: v_dual_add_f32 v60, v98, v93
	v_mul_f32_e32 v103, v24, v27
	v_fma_f32 v106, v24, v26, -v16
	v_fma_f32 v33, v30, v36, -v14
	v_mul_f32_e32 v14, v91, v48
	v_mul_f32_e32 v8, v86, v50
	v_fmac_f32_e32 v103, v53, v26
	s_waitcnt lgkmcnt(2)
	v_mul_f32_e32 v53, v64, v48
	v_mul_f32_e32 v24, v31, v52
	v_dual_mul_f32 v22, v88, v52 :: v_dual_fmac_f32 v29, v90, v54
	v_fma_f32 v26, v63, v54, -v23
	v_sub_f32_e32 v52, v105, v97
	v_sub_f32_e32 v54, v74, v67
	;; [unrolled: 1-line block ×4, first 2 shown]
	v_mul_f32_e32 v48, v92, v57
	v_add_f32_e32 v27, v20, v104
	v_dual_add_f32 v52, v52, v54 :: v_dual_fmac_f32 v35, v87, v36
	v_mul_f32_e32 v25, v61, v50
	v_fma_f32 v36, v64, v47, -v14
	v_fma_f32 v14, v61, v49, -v8
	v_add_f32_e32 v8, v58, v66
	v_sub_f32_e32 v54, v67, v74
	v_fmac_f32_e32 v53, v91, v47
	v_add_f32_e32 v47, v104, v68
	v_fmac_f32_e32 v25, v86, v49
	v_fma_f32 v8, -0.5, v8, v20
	v_add_f32_e32 v49, v28, v30
	v_fma_f32 v30, v65, v56, -v48
	v_dual_fmac_f32 v20, -0.5, v47 :: v_dual_sub_f32 v47, v58, v104
	v_sub_f32_e32 v62, v100, v77
	v_sub_f32_e32 v48, v66, v68
	s_waitcnt lgkmcnt(0)
	v_add_f32_e32 v50, v45, v105
	v_fmac_f32_e32 v24, v88, v51
	v_fma_f32 v22, v31, v51, -v22
	v_fmamk_f32 v23, v37, 0xbf737871, v8
	v_fmac_f32_e32 v8, 0x3f737871, v37
	v_dual_fmamk_f32 v28, v46, 0x3f737871, v20 :: v_dual_add_f32 v51, v97, v67
	v_add_f32_e32 v48, v47, v48
	v_dual_fmac_f32 v20, 0xbf737871, v46 :: v_dual_add_f32 v47, v50, v97
	v_fmac_f32_e32 v23, 0xbf167918, v46
	v_fmac_f32_e32 v8, 0x3f167918, v46
	;; [unrolled: 1-line block ×3, first 2 shown]
	v_fma_f32 v46, -0.5, v51, v45
	v_sub_f32_e32 v50, v104, v68
	v_dual_fmac_f32 v20, 0x3f167918, v37 :: v_dual_add_f32 v37, v47, v67
	s_delay_alu instid0(VALU_DEP_4) | instskip(NEXT) | instid1(VALU_DEP_3)
	v_dual_fmac_f32 v28, 0x3e9e377a, v48 :: v_dual_sub_f32 v51, v58, v66
	v_fmamk_f32 v47, v50, 0x3f737871, v46
	s_delay_alu instid0(VALU_DEP_3) | instskip(NEXT) | instid1(VALU_DEP_4)
	v_fmac_f32_e32 v20, 0x3e9e377a, v48
	v_add_f32_e32 v48, v37, v74
	v_dual_fmac_f32 v46, 0xbf737871, v50 :: v_dual_sub_f32 v37, v97, v105
	v_add_f32_e32 v55, v96, v83
	v_mul_f32_e32 v31, v65, v57
	v_fmac_f32_e32 v23, 0x3e9e377a, v49
	v_fmac_f32_e32 v8, 0x3e9e377a, v49
	v_dual_fmac_f32 v47, 0x3f167918, v51 :: v_dual_add_f32 v64, v102, v69
	v_fmac_f32_e32 v46, 0xbf167918, v51
	v_add_f32_e32 v54, v37, v54
	v_fma_f32 v37, -0.5, v55, v11
	v_sub_f32_e32 v55, v100, v95
	v_sub_f32_e32 v63, v95, v94
	v_add_f32_e32 v49, v105, v74
	v_fmac_f32_e32 v31, v92, v56
	v_dual_fmac_f32 v47, 0x3e9e377a, v52 :: v_dual_add_f32 v56, v11, v98
	s_delay_alu instid0(VALU_DEP_3) | instskip(SKIP_3) | instid1(VALU_DEP_4)
	v_dual_fmac_f32 v46, 0x3e9e377a, v52 :: v_dual_fmac_f32 v45, -0.5, v49
	v_dual_fmamk_f32 v52, v55, 0xbf737871, v37 :: v_dual_sub_f32 v57, v77, v94
	v_fma_f32 v64, -0.5, v64, v12
	v_sub_f32_e32 v65, v106, v81
	v_fmamk_f32 v49, v51, 0xbf737871, v45
	v_fmac_f32_e32 v45, 0x3f737871, v51
	v_add_f32_e32 v51, v56, v96
	v_sub_f32_e32 v56, v98, v96
	v_dual_fmac_f32 v52, 0xbf167918, v57 :: v_dual_add_f32 v27, v27, v58
	v_dual_sub_f32 v58, v93, v83 :: v_dual_fmac_f32 v49, 0x3f167918, v50
	s_delay_alu instid0(VALU_DEP_4) | instskip(SKIP_1) | instid1(VALU_DEP_3)
	v_dual_fmac_f32 v45, 0xbf167918, v50 :: v_dual_add_f32 v50, v51, v83
	v_fma_f32 v11, -0.5, v60, v11
	v_add_f32_e32 v51, v56, v58
	v_dual_fmac_f32 v37, 0x3f737871, v55 :: v_dual_add_f32 v60, v18, v100
	s_delay_alu instid0(VALU_DEP_4) | instskip(NEXT) | instid1(VALU_DEP_3)
	v_dual_fmac_f32 v45, 0x3e9e377a, v54 :: v_dual_add_f32 v74, v79, v75
	v_dual_fmac_f32 v52, 0x3e9e377a, v51 :: v_dual_add_f32 v27, v27, v66
	v_add_f32_e32 v56, v50, v93
	v_fmamk_f32 v58, v57, 0x3f737871, v11
	v_dual_sub_f32 v50, v96, v98 :: v_dual_fmac_f32 v37, 0x3f167918, v57
	v_fmac_f32_e32 v11, 0xbf737871, v57
	v_dual_add_f32 v57, v60, v77 :: v_dual_sub_f32 v66, v103, v102
	v_sub_f32_e32 v67, v73, v69
	v_dual_fmac_f32 v49, 0x3e9e377a, v54 :: v_dual_sub_f32 v54, v83, v93
	v_add_f32_e32 v27, v27, v68
	v_dual_add_f32 v61, v77, v94 :: v_dual_fmac_f32 v58, 0xbf167918, v55
	s_delay_alu instid0(VALU_DEP_3) | instskip(SKIP_2) | instid1(VALU_DEP_4)
	v_dual_fmac_f32 v11, 0x3f167918, v55 :: v_dual_add_f32 v54, v50, v54
	v_add_f32_e32 v55, v57, v94
	v_add_f32_e32 v57, v100, v95
	v_fma_f32 v50, -0.5, v61, v18
	s_delay_alu instid0(VALU_DEP_4) | instskip(SKIP_1) | instid1(VALU_DEP_4)
	v_dual_sub_f32 v61, v96, v83 :: v_dual_fmac_f32 v58, 0x3e9e377a, v54
	v_fmac_f32_e32 v11, 0x3e9e377a, v54
	v_fma_f32 v54, -0.5, v57, v18
	v_dual_sub_f32 v60, v98, v93 :: v_dual_fmac_f32 v37, 0x3e9e377a, v51
	v_add_f32_e32 v68, v103, v73
	ds_load_2addr_b32 v[15:16], v0 offset0:15 offset1:20
	v_fmamk_f32 v57, v61, 0xbf737871, v54
	v_fmac_f32_e32 v54, 0x3f737871, v61
	v_fmamk_f32 v51, v60, 0x3f737871, v50
	v_dual_fmac_f32 v50, 0xbf737871, v60 :: v_dual_add_f32 v85, v80, v59
	s_delay_alu instid0(VALU_DEP_4) | instskip(NEXT) | instid1(VALU_DEP_4)
	v_fmac_f32_e32 v57, 0x3f167918, v60
	v_fmac_f32_e32 v54, 0xbf167918, v60
	v_add_f32_e32 v60, v66, v67
	v_dual_sub_f32 v66, v102, v103 :: v_dual_sub_f32 v67, v69, v73
	v_fmac_f32_e32 v51, 0x3f167918, v61
	v_fmac_f32_e32 v50, 0xbf167918, v61
	v_fmamk_f32 v61, v65, 0xbf737871, v64
	v_fmac_f32_e32 v64, 0x3f737871, v65
	v_add_f32_e32 v66, v66, v67
	v_fma_f32 v67, -0.5, v74, v19
	v_sub_f32_e32 v74, v81, v75
	v_add_f32_e32 v18, v62, v63
	v_dual_sub_f32 v62, v77, v100 :: v_dual_sub_f32 v63, v94, v95
	v_dual_add_f32 v83, v99, v82 :: v_dual_add_f32 v86, v41, v53
	s_delay_alu instid0(VALU_DEP_3) | instskip(SKIP_1) | instid1(VALU_DEP_4)
	v_fmac_f32_e32 v51, 0x3e9e377a, v18
	v_fmac_f32_e32 v50, 0x3e9e377a, v18
	v_add_f32_e32 v62, v62, v63
	v_dual_add_f32 v63, v12, v103 :: v_dual_fmac_f32 v12, -0.5, v68
	v_dual_add_f32 v68, v19, v106 :: v_dual_sub_f32 v77, v101, v84
	s_delay_alu instid0(VALU_DEP_3) | instskip(NEXT) | instid1(VALU_DEP_3)
	v_fmac_f32_e32 v57, 0x3e9e377a, v62
	v_add_f32_e32 v18, v63, v102
	v_dual_sub_f32 v63, v79, v75 :: v_dual_fmac_f32 v54, 0x3e9e377a, v62
	v_add_f32_e32 v87, v33, v34
	s_waitcnt lgkmcnt(0)
	s_delay_alu instid0(VALU_DEP_3) | instskip(NEXT) | instid1(VALU_DEP_3)
	v_add_f32_e32 v18, v18, v69
	v_fmamk_f32 v62, v63, 0x3f737871, v12
	v_fmac_f32_e32 v12, 0xbf737871, v63
	v_fmac_f32_e32 v61, 0xbf167918, v63
	v_fmac_f32_e32 v64, 0x3f167918, v63
	s_delay_alu instid0(VALU_DEP_4) | instskip(NEXT) | instid1(VALU_DEP_4)
	v_dual_add_f32 v63, v68, v79 :: v_dual_fmac_f32 v62, 0xbf167918, v65
	v_fmac_f32_e32 v12, 0x3f167918, v65
	v_add_f32_e32 v65, v106, v81
	v_dual_add_f32 v18, v18, v73 :: v_dual_fmac_f32 v61, 0x3e9e377a, v60
	v_sub_f32_e32 v68, v103, v73
	v_fmac_f32_e32 v64, 0x3e9e377a, v60
	v_dual_add_f32 v60, v63, v75 :: v_dual_sub_f32 v69, v102, v69
	v_sub_f32_e32 v73, v106, v79
	v_fmac_f32_e32 v19, -0.5, v65
	v_dual_add_f32 v55, v55, v95 :: v_dual_fmac_f32 v12, 0x3e9e377a, v66
	v_fmac_f32_e32 v62, 0x3e9e377a, v66
	s_delay_alu instid0(VALU_DEP_4) | instskip(NEXT) | instid1(VALU_DEP_4)
	v_dual_add_f32 v60, v60, v81 :: v_dual_add_f32 v65, v73, v74
	v_dual_fmamk_f32 v66, v69, 0xbf737871, v19 :: v_dual_sub_f32 v73, v79, v106
	v_sub_f32_e32 v74, v75, v81
	v_fmac_f32_e32 v19, 0x3f737871, v69
	v_sub_f32_e32 v79, v99, v78
	v_sub_f32_e32 v81, v82, v76
	v_fmamk_f32 v63, v68, 0x3f737871, v67
	v_fmac_f32_e32 v67, 0xbf737871, v68
	v_fmac_f32_e32 v66, 0x3f167918, v68
	s_delay_alu instid0(VALU_DEP_4)
	v_dual_fmac_f32 v19, 0xbf167918, v68 :: v_dual_add_f32 v68, v79, v81
	v_sub_f32_e32 v79, v78, v99
	v_sub_f32_e32 v81, v76, v82
	v_fmac_f32_e32 v63, 0x3f167918, v69
	v_fmac_f32_e32 v67, 0xbf167918, v69
	v_add_f32_e32 v73, v73, v74
	s_delay_alu instid0(VALU_DEP_4)
	v_dual_add_f32 v74, v9, v99 :: v_dual_add_f32 v79, v79, v81
	v_fma_f32 v81, -0.5, v85, v15
	v_sub_f32_e32 v85, v53, v40
	v_add_f32_e32 v75, v78, v76
	v_fmac_f32_e32 v63, 0x3e9e377a, v65
	v_fmac_f32_e32 v67, 0x3e9e377a, v65
	v_dual_add_f32 v65, v74, v78 :: v_dual_sub_f32 v74, v80, v59
	s_delay_alu instid0(VALU_DEP_4) | instskip(SKIP_1) | instid1(VALU_DEP_3)
	v_fma_f32 v75, -0.5, v75, v9
	v_fma_f32 v9, -0.5, v83, v9
	v_dual_fmac_f32 v66, 0x3e9e377a, v73 :: v_dual_add_f32 v65, v65, v76
	v_fmac_f32_e32 v19, 0x3e9e377a, v73
	s_delay_alu instid0(VALU_DEP_4)
	v_fmamk_f32 v69, v77, 0xbf737871, v75
	v_fmac_f32_e32 v75, 0x3f737871, v77
	v_fmamk_f32 v73, v74, 0x3f737871, v9
	v_add_f32_e32 v83, v15, v101
	v_fmac_f32_e32 v9, 0xbf737871, v74
	v_fmac_f32_e32 v69, 0xbf167918, v74
	v_add_f32_e32 v65, v65, v82
	v_fmac_f32_e32 v75, 0x3f167918, v74
	v_dual_fmac_f32 v73, 0xbf167918, v77 :: v_dual_add_f32 v74, v83, v80
	v_dual_sub_f32 v82, v99, v82 :: v_dual_fmac_f32 v9, 0x3f167918, v77
	v_fmac_f32_e32 v69, 0x3e9e377a, v68
	s_delay_alu instid0(VALU_DEP_4) | instskip(NEXT) | instid1(VALU_DEP_4)
	v_fmac_f32_e32 v75, 0x3e9e377a, v68
	v_fmac_f32_e32 v73, 0x3e9e377a, v79
	v_add_f32_e32 v68, v74, v59
	v_dual_fmamk_f32 v74, v82, 0x3f737871, v81 :: v_dual_add_f32 v77, v101, v84
	v_sub_f32_e32 v76, v78, v76
	v_dual_sub_f32 v78, v101, v80 :: v_dual_sub_f32 v83, v84, v59
	v_fmac_f32_e32 v9, 0x3e9e377a, v79
	v_fmac_f32_e32 v81, 0xbf737871, v82
	v_sub_f32_e32 v79, v80, v101
	v_sub_f32_e32 v59, v59, v84
	v_add_f32_e32 v80, v35, v40
	v_fma_f32 v77, -0.5, v77, v15
	v_dual_fmac_f32 v74, 0x3f167918, v76 :: v_dual_add_f32 v15, v78, v83
	v_fmac_f32_e32 v81, 0xbf167918, v76
	v_add_f32_e32 v59, v79, v59
	v_add_f32_e32 v79, v10, v41
	v_fma_f32 v80, -0.5, v80, v10
	v_sub_f32_e32 v83, v32, v36
	v_add_f32_e32 v68, v68, v84
	v_fmamk_f32 v78, v76, 0xbf737871, v77
	v_fmac_f32_e32 v74, 0x3e9e377a, v15
	v_fmac_f32_e32 v81, 0x3e9e377a, v15
	;; [unrolled: 1-line block ×3, first 2 shown]
	v_add_f32_e32 v15, v79, v35
	v_dual_fmamk_f32 v76, v83, 0xbf737871, v80 :: v_dual_sub_f32 v79, v33, v34
	v_sub_f32_e32 v84, v41, v35
	v_fmac_f32_e32 v80, 0x3f737871, v83
	v_fmac_f32_e32 v78, 0x3f167918, v82
	s_delay_alu instid0(VALU_DEP_4) | instskip(NEXT) | instid1(VALU_DEP_4)
	v_dual_fmac_f32 v77, 0xbf167918, v82 :: v_dual_fmac_f32 v76, 0xbf167918, v79
	v_add_f32_e32 v82, v84, v85
	v_fmac_f32_e32 v10, -0.5, v86
	v_sub_f32_e32 v84, v35, v41
	v_dual_sub_f32 v85, v40, v53 :: v_dual_fmac_f32 v80, 0x3f167918, v79
	v_add_f32_e32 v86, v16, v32
	v_dual_fmac_f32 v78, 0x3e9e377a, v59 :: v_dual_add_f32 v15, v15, v40
	v_dual_fmac_f32 v77, 0x3e9e377a, v59 :: v_dual_fmac_f32 v76, 0x3e9e377a, v82
	s_delay_alu instid0(VALU_DEP_4) | instskip(NEXT) | instid1(VALU_DEP_4)
	v_dual_fmamk_f32 v59, v79, 0x3f737871, v10 :: v_dual_add_f32 v84, v84, v85
	v_dual_fmac_f32 v10, 0xbf737871, v79 :: v_dual_add_f32 v79, v86, v33
	v_fma_f32 v85, -0.5, v87, v16
	v_dual_sub_f32 v41, v41, v53 :: v_dual_fmac_f32 v80, 0x3e9e377a, v82
	v_add_f32_e32 v82, v32, v36
	v_dual_sub_f32 v35, v35, v40 :: v_dual_sub_f32 v40, v32, v33
	v_sub_f32_e32 v32, v33, v32
	v_sub_f32_e32 v33, v34, v36
	v_add_f32_e32 v15, v15, v53
	v_fmac_f32_e32 v59, 0xbf167918, v83
	v_dual_fmac_f32 v10, 0x3f167918, v83 :: v_dual_add_f32 v53, v79, v34
	v_fmamk_f32 v79, v41, 0x3f737871, v85
	v_sub_f32_e32 v83, v36, v34
	v_dual_fmac_f32 v16, -0.5, v82 :: v_dual_fmac_f32 v85, 0xbf737871, v41
	v_add_f32_e32 v34, v24, v29
	v_add_f32_e32 v32, v32, v33
	;; [unrolled: 1-line block ×3, first 2 shown]
	v_fmac_f32_e32 v59, 0x3e9e377a, v84
	v_fmac_f32_e32 v10, 0x3e9e377a, v84
	;; [unrolled: 1-line block ×3, first 2 shown]
	v_add_f32_e32 v40, v40, v83
	v_fmamk_f32 v82, v35, 0xbf737871, v16
	v_fmac_f32_e32 v85, 0xbf167918, v35
	v_fmac_f32_e32 v16, 0x3f737871, v35
	v_fma_f32 v34, -0.5, v34, v7
	v_sub_f32_e32 v35, v14, v30
	v_add_f32_e32 v33, v33, v24
	v_add_f32_e32 v84, v25, v31
	;; [unrolled: 1-line block ×3, first 2 shown]
	v_fmac_f32_e32 v79, 0x3e9e377a, v40
	v_fmac_f32_e32 v82, 0x3f167918, v41
	;; [unrolled: 1-line block ×4, first 2 shown]
	v_fmamk_f32 v36, v35, 0xbf737871, v34
	v_dual_sub_f32 v40, v22, v26 :: v_dual_sub_f32 v41, v25, v24
	v_dual_sub_f32 v83, v31, v29 :: v_dual_fmac_f32 v34, 0x3f737871, v35
	v_add_f32_e32 v33, v33, v29
	v_fmac_f32_e32 v7, -0.5, v84
	v_fmac_f32_e32 v82, 0x3e9e377a, v32
	s_delay_alu instid0(VALU_DEP_4)
	v_dual_fmac_f32 v36, 0xbf167918, v40 :: v_dual_add_f32 v41, v41, v83
	v_fmac_f32_e32 v34, 0x3f167918, v40
	v_fmac_f32_e32 v16, 0x3e9e377a, v32
	v_dual_add_f32 v32, v33, v31 :: v_dual_fmamk_f32 v33, v40, 0x3f737871, v7
	v_dual_fmac_f32 v7, 0xbf737871, v40 :: v_dual_add_f32 v40, v13, v14
	v_fmac_f32_e32 v36, 0x3e9e377a, v41
	v_dual_fmac_f32 v34, 0x3e9e377a, v41 :: v_dual_add_f32 v41, v22, v26
	v_dual_sub_f32 v83, v24, v25 :: v_dual_sub_f32 v84, v29, v31
	v_fmac_f32_e32 v33, 0xbf167918, v35
	v_fmac_f32_e32 v7, 0x3f167918, v35
	v_add_f32_e32 v35, v40, v22
	v_add_f32_e32 v40, v14, v30
	v_fma_f32 v86, -0.5, v41, v13
	v_sub_f32_e32 v25, v25, v31
	v_dual_add_f32 v31, v83, v84 :: v_dual_sub_f32 v24, v24, v29
	s_delay_alu instid0(VALU_DEP_4) | instskip(SKIP_1) | instid1(VALU_DEP_4)
	v_fmac_f32_e32 v13, -0.5, v40
	v_add_f32_e32 v29, v35, v26
	v_fmamk_f32 v83, v25, 0x3f737871, v86
	s_delay_alu instid0(VALU_DEP_4)
	v_fmac_f32_e32 v33, 0x3e9e377a, v31
	v_fmac_f32_e32 v7, 0x3e9e377a, v31
	v_sub_f32_e32 v31, v14, v22
	v_dual_sub_f32 v35, v30, v26 :: v_dual_fmac_f32 v86, 0xbf737871, v25
	v_fmamk_f32 v84, v24, 0xbf737871, v13
	v_sub_f32_e32 v14, v22, v14
	v_dual_sub_f32 v22, v26, v30 :: v_dual_fmac_f32 v13, 0x3f737871, v24
	s_delay_alu instid0(VALU_DEP_4) | instskip(SKIP_2) | instid1(VALU_DEP_4)
	v_dual_fmac_f32 v83, 0x3f167918, v24 :: v_dual_add_f32 v26, v31, v35
	v_fmac_f32_e32 v86, 0xbf167918, v24
	v_fmac_f32_e32 v84, 0x3f167918, v25
	v_dual_add_f32 v14, v14, v22 :: v_dual_fmac_f32 v13, 0xbf167918, v25
	s_barrier
	buffer_gl0_inv
	ds_store_2addr_b32 v0, v27, v56 offset1:5
	ds_store_2addr_b32 v0, v23, v52 offset0:10 offset1:15
	ds_store_2addr_b32 v0, v28, v58 offset0:20 offset1:25
	;; [unrolled: 1-line block ×3, first 2 shown]
	v_fmac_f32_e32 v84, 0x3e9e377a, v14
	v_lshl_add_u32 v56, v21, 2, v17
	v_lshl_add_u32 v52, v72, 2, v17
	;; [unrolled: 1-line block ×3, first 2 shown]
	v_add_f32_e32 v87, v29, v30
	v_fmac_f32_e32 v83, 0x3e9e377a, v26
	v_fmac_f32_e32 v86, 0x3e9e377a, v26
	;; [unrolled: 1-line block ×3, first 2 shown]
	ds_store_2addr_b32 v0, v8, v37 offset0:40 offset1:45
	ds_store_b32 v0, v18 offset:200
	ds_store_b32 v0, v61 offset:240
	;; [unrolled: 1-line block ×3, first 2 shown]
	ds_store_b32 v52, v12
	ds_store_b32 v0, v65 offset:220
	ds_store_b32 v0, v69 offset:260
	ds_store_2addr_b32 v0, v73, v9 offset0:75 offset1:85
	ds_store_2addr_b32 v0, v64, v75 offset0:90 offset1:95
	;; [unrolled: 1-line block ×4, first 2 shown]
	ds_store_b32 v56, v80 offset:560
	ds_store_2addr_b32 v5, v32, v36 offset0:100 offset1:110
	ds_store_2addr_b32 v5, v33, v7 offset0:120 offset1:130
	ds_store_b32 v5, v34 offset:560
	s_waitcnt lgkmcnt(0)
	s_barrier
	buffer_gl0_inv
	ds_load_2addr_b32 v[20:21], v0 offset0:50 offset1:55
	ds_load_2addr_b32 v[17:18], v0 offset0:100 offset1:105
	;; [unrolled: 1-line block ×12, first 2 shown]
	ds_load_b32 v40, v42
	ds_load_b32 v41, v43
	ds_load_2addr_b32 v[36:37], v0 offset0:90 offset1:95
	ds_load_2addr_b32 v[34:35], v0 offset0:140 offset1:145
	s_waitcnt lgkmcnt(0)
	s_barrier
	buffer_gl0_inv
	ds_store_2addr_b32 v0, v48, v55 offset1:5
	ds_store_2addr_b32 v0, v47, v51 offset0:10 offset1:15
	ds_store_2addr_b32 v0, v49, v57 offset0:20 offset1:25
	;; [unrolled: 1-line block ×4, first 2 shown]
	ds_store_b32 v0, v60 offset:200
	ds_store_b32 v0, v63 offset:240
	;; [unrolled: 1-line block ×3, first 2 shown]
	ds_store_b32 v52, v19
	ds_store_b32 v0, v68 offset:220
	ds_store_b32 v0, v74 offset:260
	ds_store_2addr_b32 v0, v78, v77 offset0:75 offset1:85
	ds_store_2addr_b32 v0, v67, v81 offset0:90 offset1:95
	;; [unrolled: 1-line block ×4, first 2 shown]
	ds_store_b32 v56, v85 offset:560
	ds_store_2addr_b32 v5, v87, v83 offset0:100 offset1:110
	ds_store_2addr_b32 v5, v84, v13 offset0:120 offset1:130
	ds_store_b32 v5, v86 offset:560
	s_waitcnt lgkmcnt(0)
	s_barrier
	buffer_gl0_inv
	s_and_saveexec_b32 s0, vcc_lo
	s_cbranch_execz .LBB0_14
; %bb.13:
	v_dual_mov_b32 v84, v6 :: v_dual_lshlrev_b32 v83, 1, v70
	v_mul_lo_u32 v19, s3, v3
	v_lshlrev_b64 v[1:2], 3, v[1:2]
	v_add_nc_u32_e32 v102, 20, v70
	s_delay_alu instid0(VALU_DEP_4) | instskip(SKIP_1) | instid1(VALU_DEP_2)
	v_add_nc_u32_e32 v5, 0x5a, v83
	v_add_nc_u32_e32 v114, 25, v70
	v_lshlrev_b64 v[45:46], 3, v[5:6]
	s_delay_alu instid0(VALU_DEP_1) | instskip(NEXT) | instid1(VALU_DEP_2)
	v_add_co_u32 v45, vcc_lo, s8, v45
	v_add_co_ci_u32_e32 v46, vcc_lo, s9, v46, vcc_lo
	global_load_b128 v[45:48], v[45:46], off offset:320
	v_lshlrev_b32_e32 v5, 1, v71
	s_delay_alu instid0(VALU_DEP_1) | instskip(NEXT) | instid1(VALU_DEP_1)
	v_lshlrev_b64 v[49:50], 3, v[5:6]
	v_add_co_u32 v49, vcc_lo, s8, v49
	s_delay_alu instid0(VALU_DEP_2) | instskip(SKIP_2) | instid1(VALU_DEP_1)
	v_add_co_ci_u32_e32 v50, vcc_lo, s9, v50, vcc_lo
	global_load_b128 v[49:52], v[49:50], off offset:320
	v_add_nc_u32_e32 v5, 0x46, v83
	v_lshlrev_b64 v[53:54], 3, v[5:6]
	s_delay_alu instid0(VALU_DEP_1) | instskip(NEXT) | instid1(VALU_DEP_2)
	v_add_co_u32 v53, vcc_lo, s8, v53
	v_add_co_ci_u32_e32 v54, vcc_lo, s9, v54, vcc_lo
	global_load_b128 v[53:56], v[53:54], off offset:320
	v_add_nc_u32_e32 v5, 60, v83
	s_delay_alu instid0(VALU_DEP_1) | instskip(SKIP_1) | instid1(VALU_DEP_1)
	v_lshlrev_b64 v[57:58], 3, v[5:6]
	v_lshlrev_b32_e32 v5, 1, v39
	v_lshlrev_b64 v[61:62], 3, v[5:6]
	s_delay_alu instid0(VALU_DEP_3) | instskip(NEXT) | instid1(VALU_DEP_4)
	v_add_co_u32 v57, vcc_lo, s8, v57
	v_add_co_ci_u32_e32 v58, vcc_lo, s9, v58, vcc_lo
	v_lshlrev_b32_e32 v5, 1, v38
	s_delay_alu instid0(VALU_DEP_4)
	v_add_co_u32 v61, vcc_lo, s8, v61
	v_add_co_ci_u32_e32 v62, vcc_lo, s9, v62, vcc_lo
	global_load_b128 v[57:60], v[57:58], off offset:320
	v_lshlrev_b64 v[38:39], 3, v[5:6]
	v_add_nc_u32_e32 v5, 30, v83
	global_load_b128 v[61:64], v[61:62], off offset:320
	v_add_co_u32 v38, vcc_lo, s8, v38
	v_add_co_ci_u32_e32 v39, vcc_lo, s9, v39, vcc_lo
	global_load_b128 v[65:68], v[38:39], off offset:320
	v_lshlrev_b64 v[38:39], 3, v[5:6]
	v_add_nc_u32_e32 v5, 20, v83
	s_delay_alu instid0(VALU_DEP_2) | instskip(NEXT) | instid1(VALU_DEP_3)
	v_add_co_u32 v38, vcc_lo, s8, v38
	v_add_co_ci_u32_e32 v39, vcc_lo, s9, v39, vcc_lo
	global_load_b128 v[71:74], v[38:39], off offset:320
	v_lshlrev_b64 v[38:39], 3, v[5:6]
	v_lshlrev_b32_e32 v5, 1, v44
	s_delay_alu instid0(VALU_DEP_2) | instskip(NEXT) | instid1(VALU_DEP_3)
	v_add_co_u32 v38, vcc_lo, s8, v38
	v_add_co_ci_u32_e32 v39, vcc_lo, s9, v39, vcc_lo
	global_load_b128 v[75:78], v[38:39], off offset:320
	v_lshlrev_b64 v[38:39], 3, v[5:6]
	s_delay_alu instid0(VALU_DEP_1) | instskip(NEXT) | instid1(VALU_DEP_2)
	v_add_co_u32 v38, vcc_lo, s8, v38
	v_add_co_ci_u32_e32 v39, vcc_lo, s9, v39, vcc_lo
	global_load_b128 v[79:82], v[38:39], off offset:320
	v_lshlrev_b64 v[38:39], 3, v[83:84]
	s_delay_alu instid0(VALU_DEP_1) | instskip(NEXT) | instid1(VALU_DEP_2)
	v_add_co_u32 v38, vcc_lo, s8, v38
	v_add_co_ci_u32_e32 v39, vcc_lo, s9, v39, vcc_lo
	global_load_b128 v[83:86], v[38:39], off offset:320
	ds_load_2addr_b32 v[38:39], v0 offset0:90 offset1:95
	ds_load_2addr_b32 v[87:88], v0 offset0:140 offset1:145
	;; [unrolled: 1-line block ×4, first 2 shown]
	s_waitcnt vmcnt(9)
	v_mul_f32_e32 v5, v37, v46
	s_waitcnt lgkmcnt(3)
	v_mul_f32_e32 v16, v39, v46
	v_mul_f32_e32 v13, v35, v48
	s_waitcnt lgkmcnt(2)
	v_mul_f32_e32 v69, v88, v48
	v_mul_lo_u32 v46, s2, v4
	v_fma_f32 v39, v39, v45, -v5
	v_fmac_f32_e32 v16, v37, v45
	ds_load_2addr_b32 v[44:45], v0 offset0:70 offset1:75
	s_waitcnt vmcnt(8)
	v_mul_f32_e32 v5, v36, v50
	v_mul_f32_e32 v93, v38, v50
	v_add_nc_u32_e32 v50, 5, v70
	v_fma_f32 v13, v88, v47, -v13
	s_waitcnt vmcnt(7) lgkmcnt(1)
	v_dual_mul_f32 v94, v90, v54 :: v_dual_mul_f32 v95, v92, v56
	s_delay_alu instid0(VALU_DEP_1)
	v_dual_fmac_f32 v94, v33, v53 :: v_dual_fmac_f32 v95, v31, v55
	s_waitcnt vmcnt(5)
	v_mul_f32_e32 v48, v27, v64
	v_fma_f32 v88, v38, v49, -v5
	v_mad_u64_u32 v[4:5], null, s2, v3, 0
	s_waitcnt lgkmcnt(0)
	v_mul_f32_e32 v96, v45, v62
	v_mul_f32_e32 v3, v33, v54
	ds_load_2addr_b32 v[37:38], v0 offset0:35 offset1:45
	v_sub_f32_e32 v54, v39, v13
	v_fmac_f32_e32 v96, v29, v61
	v_add3_u32 v5, v5, v46, v19
	v_mul_f32_e32 v19, v30, v60
	v_mul_f32_e32 v60, v91, v60
	s_delay_alu instid0(VALU_DEP_1)
	v_fmac_f32_e32 v60, v30, v59
	v_fmac_f32_e32 v69, v35, v47
	v_mul_f32_e32 v35, v34, v52
	v_mul_f32_e32 v52, v87, v52
	ds_load_2addr_b32 v[46:47], v0 offset0:5 offset1:10
	v_fma_f32 v87, v87, v51, -v35
	v_fmac_f32_e32 v52, v34, v51
	v_mul_f32_e32 v34, v31, v56
	v_fma_f32 v56, v90, v53, -v3
	v_mul_f32_e32 v3, v32, v58
	ds_load_2addr_b32 v[30:31], v0 offset0:60 offset1:65
	v_fma_f32 v90, v92, v55, -v34
	ds_load_2addr_b32 v[33:34], v0 offset0:120 offset1:125
	v_mul_f32_e32 v92, v89, v58
	v_fma_f32 v89, v89, v57, -v3
	v_lshlrev_b64 v[3:4], 3, v[4:5]
	s_delay_alu instid0(VALU_DEP_3) | instskip(SKIP_1) | instid1(VALU_DEP_3)
	v_dual_mul_f32 v5, v29, v62 :: v_dual_fmac_f32 v92, v32, v57
	v_mul_hi_u32 v32, 0x51eb851f, v50
	v_add_co_u32 v3, vcc_lo, s6, v3
	s_delay_alu instid0(VALU_DEP_4) | instskip(NEXT) | instid1(VALU_DEP_2)
	v_add_co_ci_u32_e32 v4, vcc_lo, s7, v4, vcc_lo
	v_add_co_u32 v1, vcc_lo, v3, v1
	s_delay_alu instid0(VALU_DEP_2)
	v_add_co_ci_u32_e32 v2, vcc_lo, v4, v2, vcc_lo
	s_waitcnt vmcnt(2) lgkmcnt(1)
	v_mul_f32_e32 v108, v30, v76
	ds_load_2addr_b32 v[3:4], v0 offset0:50 offset1:55
	s_waitcnt lgkmcnt(1)
	v_mul_f32_e32 v64, v34, v64
	v_fma_f32 v98, v34, v63, -v48
	v_dual_mul_f32 v101, v33, v68 :: v_dual_fmac_f32 v108, v24, v75
	v_fma_f32 v97, v45, v61, -v5
	s_delay_alu instid0(VALU_DEP_4)
	v_dual_fmac_f32 v64, v27, v63 :: v_dual_fmac_f32 v93, v36, v49
	ds_load_2addr_b32 v[48:49], v0 offset0:110 offset1:115
	v_fmac_f32_e32 v101, v26, v67
	v_mul_f32_e32 v45, v26, v68
	v_lshrrev_b32_e32 v32, 4, v32
	v_mul_f32_e32 v103, v31, v72
	ds_load_2addr_b32 v[35:36], v0 offset0:25 offset1:30
	v_sub_f32_e32 v57, v88, v87
	v_sub_f32_e32 v68, v96, v64
	v_mul_lo_u32 v5, v32, 50
	s_waitcnt vmcnt(1) lgkmcnt(2)
	v_dual_fmac_f32 v103, v25, v71 :: v_dual_mul_f32 v110, v4, v80
	v_mul_f32_e32 v27, v28, v66
	v_mul_f32_e32 v66, v44, v66
	s_delay_alu instid0(VALU_DEP_4) | instskip(NEXT) | instid1(VALU_DEP_4)
	v_sub_nc_u32_e32 v5, v50, v5
	v_fmac_f32_e32 v110, v21, v79
	s_delay_alu instid0(VALU_DEP_4) | instskip(NEXT) | instid1(VALU_DEP_4)
	v_fma_f32 v99, v44, v65, -v27
	v_fmac_f32_e32 v66, v28, v65
	v_fma_f32 v91, v91, v59, -v19
	s_waitcnt lgkmcnt(1)
	v_mul_f32_e32 v104, v49, v74
	v_add_nc_u32_e32 v19, 10, v70
	v_mad_u64_u32 v[27:28], null, 0x96, v32, v[5:6]
	v_fma_f32 v100, v33, v67, -v45
	s_delay_alu instid0(VALU_DEP_4) | instskip(NEXT) | instid1(VALU_DEP_4)
	v_fmac_f32_e32 v104, v23, v73
	v_mul_hi_u32 v51, 0x51eb851f, v19
	v_add_nc_u32_e32 v50, 15, v70
	v_mov_b32_e32 v28, v6
	v_mul_hi_u32 v44, 0x51eb851f, v70
	v_mul_f32_e32 v109, v48, v78
	v_sub_f32_e32 v65, v89, v91
	v_sub_f32_e32 v61, v56, v90
	s_waitcnt lgkmcnt(0)
	v_add_f32_e32 v62, v36, v89
	v_lshrrev_b32_e32 v29, 4, v51
	v_fmac_f32_e32 v109, v22, v77
	s_delay_alu instid0(VALU_DEP_2) | instskip(NEXT) | instid1(VALU_DEP_1)
	v_mul_lo_u32 v34, v29, 50
	v_sub_nc_u32_e32 v5, v19, v34
	v_mul_f32_e32 v19, v23, v74
	v_mul_hi_u32 v23, 0x51eb851f, v50
	s_delay_alu instid0(VALU_DEP_3) | instskip(SKIP_1) | instid1(VALU_DEP_4)
	v_mad_u64_u32 v[32:33], null, 0x96, v29, v[5:6]
	v_mul_f32_e32 v5, v25, v72
	v_fma_f32 v106, v49, v73, -v19
	v_mul_f32_e32 v19, v24, v76
	v_lshlrev_b64 v[28:29], 3, v[27:28]
	v_lshrrev_b32_e32 v49, 4, v23
	v_fma_f32 v105, v31, v71, -v5
	v_add_nc_u32_e32 v5, 50, v27
	v_fma_f32 v107, v30, v75, -v19
	ds_load_2addr_b32 v[30:31], v0 offset0:100 offset1:105
	v_mov_b32_e32 v33, v6
	v_add_co_u32 v28, vcc_lo, v1, v28
	v_add_co_ci_u32_e32 v29, vcc_lo, v2, v29, vcc_lo
	s_delay_alu instid0(VALU_DEP_3)
	v_lshlrev_b64 v[25:26], 3, v[32:33]
	v_lshlrev_b64 v[33:34], 3, v[5:6]
	v_add_nc_u32_e32 v5, 0x64, v27
	v_mul_f32_e32 v27, v22, v78
	v_lshrrev_b32_e32 v19, 4, v44
	v_mul_lo_u32 v51, v49, 50
	v_add_co_u32 v25, vcc_lo, v1, v25
	v_lshlrev_b64 v[22:23], 3, v[5:6]
	v_add_nc_u32_e32 v5, 50, v32
	v_add_co_ci_u32_e32 v26, vcc_lo, v2, v26, vcc_lo
	v_add_co_u32 v33, vcc_lo, v1, v33
	s_delay_alu instid0(VALU_DEP_3)
	v_lshlrev_b64 v[44:45], 3, v[5:6]
	v_dual_mul_f32 v32, v18, v82 :: v_dual_add_nc_u32 v5, 0x64, v32
	s_waitcnt lgkmcnt(0)
	v_mul_f32_e32 v82, v31, v82
	v_fma_f32 v27, v48, v77, -v27
	v_mul_lo_u32 v48, v19, 50
	v_add_co_ci_u32_e32 v34, vcc_lo, v2, v34, vcc_lo
	v_mul_f32_e32 v19, v21, v80
	v_add_co_u32 v22, vcc_lo, v1, v22
	v_add_co_ci_u32_e32 v23, vcc_lo, v2, v23, vcc_lo
	v_fmac_f32_e32 v82, v18, v81
	v_add_co_u32 v18, vcc_lo, v1, v44
	v_fma_f32 v111, v4, v79, -v19
	v_lshlrev_b64 v[4:5], 3, v[5:6]
	v_add_co_ci_u32_e32 v19, vcc_lo, v2, v45, vcc_lo
	ds_load_2addr_b32 v[44:45], v0 offset0:15 offset1:20
	ds_load_b32 v53, v43
	ds_load_b32 v113, v42
	v_sub_nc_u32_e32 v0, v50, v51
	v_fma_f32 v112, v31, v81, -v32
	v_add_co_u32 v31, vcc_lo, v1, v4
	s_waitcnt vmcnt(0)
	v_mul_f32_e32 v4, v20, v84
	v_mad_u64_u32 v[42:43], null, 0x96, v49, v[0:1]
	v_mul_f32_e32 v0, v17, v86
	v_mul_f32_e32 v84, v3, v84
	v_add_co_ci_u32_e32 v32, vcc_lo, v2, v5, vcc_lo
	v_sub_nc_u32_e32 v5, v70, v48
	s_delay_alu instid0(VALU_DEP_4) | instskip(SKIP_4) | instid1(VALU_DEP_4)
	v_fma_f32 v0, v30, v85, -v0
	v_mul_f32_e32 v30, v30, v86
	v_fmac_f32_e32 v84, v20, v83
	v_dual_add_f32 v20, v39, v13 :: v_dual_add_f32 v21, v38, v39
	v_add_f32_e32 v48, v16, v69
	v_fmac_f32_e32 v30, v17, v85
	v_sub_f32_e32 v17, v16, v69
	v_add_f32_e32 v39, v15, v16
	v_fma_f32 v16, -0.5, v20, v38
	v_add_f32_e32 v38, v93, v52
	v_fma_f32 v15, -0.5, v48, v15
	v_fma_f32 v81, v3, v83, -v4
	v_lshlrev_b32_e32 v3, 3, v5
	v_add_f32_e32 v67, v12, v92
	v_fma_f32 v48, -0.5, v38, v41
	v_fmamk_f32 v38, v54, 0x3f5db3d7, v15
	v_fmac_f32_e32 v15, 0xbf5db3d7, v54
	s_waitcnt lgkmcnt(0)
	v_dual_add_f32 v63, v92, v60 :: v_dual_add_f32 v86, v113, v81
	v_dual_fmamk_f32 v54, v57, 0x3f5db3d7, v48 :: v_dual_add_nc_u32 v5, 50, v42
	v_dual_fmac_f32 v48, 0xbf5db3d7, v57 :: v_dual_mov_b32 v43, v6
	v_dual_add_f32 v20, v39, v69 :: v_dual_fmamk_f32 v39, v17, 0xbf5db3d7, v16
	v_fmac_f32_e32 v16, 0x3f5db3d7, v17
	v_add_f32_e32 v17, v41, v93
	v_sub_f32_e32 v41, v93, v52
	v_sub_f32_e32 v75, v99, v100
	v_add_f32_e32 v71, v10, v66
	v_lshlrev_b64 v[50:51], 3, v[5:6]
	v_add_f32_e32 v52, v17, v52
	v_add_f32_e32 v21, v21, v13
	;; [unrolled: 1-line block ×4, first 2 shown]
	v_sub_f32_e32 v77, v105, v106
	v_add_f32_e32 v79, v108, v109
	v_sub_f32_e32 v83, v107, v27
	v_fma_f32 v49, -0.5, v13, v53
	v_add_f32_e32 v13, v53, v88
	v_add_f32_e32 v59, v17, v90
	;; [unrolled: 1-line block ×3, first 2 shown]
	v_mul_hi_u32 v24, 0x51eb851f, v102
	v_fmamk_f32 v55, v41, 0xbf5db3d7, v49
	v_add_f32_e32 v53, v13, v87
	v_add_f32_e32 v13, v56, v90
	v_fmac_f32_e32 v49, 0x3f5db3d7, v41
	v_sub_f32_e32 v87, v84, v30
	v_sub_f32_e32 v69, v97, v98
	v_add_f32_e32 v41, v94, v95
	v_fma_f32 v57, -0.5, v13, v37
	v_sub_f32_e32 v37, v94, v95
	v_add_f32_e32 v13, v14, v94
	v_add_f32_e32 v85, v8, v108
	v_fma_f32 v56, -0.5, v41, v14
	s_delay_alu instid0(VALU_DEP_4)
	v_dual_sub_f32 v41, v92, v60 :: v_dual_fmamk_f32 v14, v37, 0xbf5db3d7, v57
	v_fmac_f32_e32 v57, 0x3f5db3d7, v37
	v_fma_f32 v37, -0.5, v17, v36
	v_fma_f32 v36, -0.5, v63, v12
	v_add_f32_e32 v12, v97, v98
	v_add_f32_e32 v60, v67, v60
	;; [unrolled: 1-line block ×3, first 2 shown]
	v_lshrrev_b32_e32 v24, 4, v24
	v_add_f32_e32 v88, v40, v84
	v_fma_f32 v12, -0.5, v12, v35
	v_add_f32_e32 v35, v11, v96
	v_add_co_u32 v3, vcc_lo, v1, v3
	v_sub_f32_e32 v89, v111, v112
	s_delay_alu instid0(VALU_DEP_4)
	v_fmamk_f32 v67, v68, 0xbf5db3d7, v12
	v_fmac_f32_e32 v12, 0x3f5db3d7, v68
	v_add_f32_e32 v68, v66, v101
	v_mul_lo_u32 v115, v24, 50
	v_add_co_ci_u32_e32 v4, vcc_lo, 0, v2, vcc_lo
	v_add_f32_e32 v71, v71, v101
	s_delay_alu instid0(VALU_DEP_4) | instskip(NEXT) | instid1(VALU_DEP_1)
	v_fma_f32 v68, -0.5, v68, v10
	v_dual_add_f32 v10, v105, v106 :: v_dual_fmamk_f32 v73, v75, 0x3f5db3d7, v68
	v_fmac_f32_e32 v68, 0xbf5db3d7, v75
	s_delay_alu instid0(VALU_DEP_2) | instskip(SKIP_4) | instid1(VALU_DEP_4)
	v_fma_f32 v10, -0.5, v10, v44
	v_sub_f32_e32 v75, v103, v104
	v_dual_add_f32 v58, v13, v95 :: v_dual_add_nc_u32 v5, 0x64, v42
	v_fmamk_f32 v13, v61, 0x3f5db3d7, v56
	v_fmac_f32_e32 v56, 0xbf5db3d7, v61
	v_fmamk_f32 v76, v75, 0xbf5db3d7, v10
	v_fmac_f32_e32 v10, 0x3f5db3d7, v75
	;; [unrolled: 2-line block ×3, first 2 shown]
	v_add_f32_e32 v41, v96, v64
	v_dual_add_f32 v61, v62, v91 :: v_dual_fmamk_f32 v62, v65, 0x3f5db3d7, v36
	v_dual_fmac_f32 v36, 0xbf5db3d7, v65 :: v_dual_add_f32 v65, v17, v98
	s_delay_alu instid0(VALU_DEP_3) | instskip(SKIP_2) | instid1(VALU_DEP_3)
	v_fma_f32 v11, -0.5, v41, v11
	v_add_f32_e32 v17, v99, v100
	v_dual_add_f32 v41, v45, v99 :: v_dual_add_f32 v64, v35, v64
	v_dual_sub_f32 v35, v66, v101 :: v_dual_fmamk_f32 v66, v69, 0x3f5db3d7, v11
	v_fmac_f32_e32 v11, 0xbf5db3d7, v69
	s_delay_alu instid0(VALU_DEP_4) | instskip(NEXT) | instid1(VALU_DEP_4)
	v_fma_f32 v69, -0.5, v17, v45
	v_dual_add_f32 v72, v41, v100 :: v_dual_add_f32 v17, v44, v105
	v_add_f32_e32 v41, v9, v103
	v_lshlrev_b64 v[42:43], 3, v[42:43]
	s_delay_alu instid0(VALU_DEP_4)
	v_fmamk_f32 v74, v35, 0xbf5db3d7, v69
	v_fmac_f32_e32 v69, 0x3f5db3d7, v35
	v_add_f32_e32 v35, v103, v104
	v_add_f32_e32 v45, v17, v106
	v_dual_add_f32 v44, v41, v104 :: v_dual_add_f32 v17, v107, v27
	v_add_f32_e32 v41, v47, v107
	s_delay_alu instid0(VALU_DEP_4) | instskip(SKIP_1) | instid1(VALU_DEP_4)
	v_fma_f32 v9, -0.5, v35, v9
	v_sub_f32_e32 v35, v108, v109
	v_fma_f32 v78, -0.5, v17, v47
	s_delay_alu instid0(VALU_DEP_4)
	v_add_f32_e32 v80, v41, v27
	v_add_f32_e32 v17, v46, v111
	;; [unrolled: 1-line block ×3, first 2 shown]
	v_fmamk_f32 v75, v77, 0x3f5db3d7, v9
	v_fmac_f32_e32 v9, 0xbf5db3d7, v77
	v_fma_f32 v77, -0.5, v79, v8
	v_add_f32_e32 v8, v111, v112
	v_add_f32_e32 v41, v7, v110
	v_fma_f32 v7, -0.5, v27, v7
	v_add_f32_e32 v27, v81, v0
	v_add_f32_e32 v47, v17, v112
	;; [unrolled: 1-line block ×4, first 2 shown]
	v_fma_f32 v8, -0.5, v8, v46
	v_sub_f32_e32 v85, v110, v82
	v_add_f32_e32 v46, v41, v82
	v_fmamk_f32 v82, v35, 0xbf5db3d7, v78
	v_dual_fmac_f32 v78, 0x3f5db3d7, v35 :: v_dual_sub_f32 v35, v81, v0
	v_fma_f32 v41, -0.5, v27, v113
	v_fma_f32 v40, -0.5, v17, v40
	v_fmamk_f32 v81, v83, 0x3f5db3d7, v77
	v_dual_fmac_f32 v77, 0xbf5db3d7, v83 :: v_dual_add_f32 v84, v86, v0
	s_delay_alu instid0(VALU_DEP_4)
	v_dual_add_f32 v83, v88, v30 :: v_dual_fmamk_f32 v88, v87, 0xbf5db3d7, v41
	v_fmac_f32_e32 v41, 0x3f5db3d7, v87
	v_fmamk_f32 v87, v35, 0x3f5db3d7, v40
	v_fmac_f32_e32 v40, 0xbf5db3d7, v35
	v_fmamk_f32 v86, v85, 0xbf5db3d7, v8
	v_dual_fmac_f32 v8, 0x3f5db3d7, v85 :: v_dual_fmamk_f32 v85, v89, 0x3f5db3d7, v7
	v_fmac_f32_e32 v7, 0xbf5db3d7, v89
	s_clause 0x8
	global_store_b64 v[3:4], v[83:84], off
	global_store_b64 v[3:4], v[40:41], off offset:400
	global_store_b64 v[3:4], v[87:88], off offset:800
	global_store_b64 v[28:29], v[46:47], off
	global_store_b64 v[33:34], v[7:8], off
	;; [unrolled: 1-line block ×6, first 2 shown]
	v_lshlrev_b64 v[7:8], 3, v[5:6]
	v_mul_hi_u32 v5, 0x51eb851f, v114
	v_sub_nc_u32_e32 v0, v102, v115
	v_add_co_u32 v3, vcc_lo, v1, v42
	v_add_co_ci_u32_e32 v4, vcc_lo, v2, v43, vcc_lo
	s_delay_alu instid0(VALU_DEP_3) | instskip(SKIP_3) | instid1(VALU_DEP_3)
	v_mad_u64_u32 v[22:23], null, 0x96, v24, v[0:1]
	v_lshrrev_b32_e32 v19, 4, v5
	v_add_co_u32 v17, vcc_lo, v1, v50
	v_add_co_ci_u32_e32 v18, vcc_lo, v2, v51, vcc_lo
	v_mul_lo_u32 v0, v19, 50
	v_add_co_u32 v7, vcc_lo, v1, v7
	v_mov_b32_e32 v23, v6
	v_add_nc_u32_e32 v5, 50, v22
	v_add_co_ci_u32_e32 v8, vcc_lo, v2, v8, vcc_lo
	s_clause 0x2
	global_store_b64 v[3:4], v[44:45], off
	global_store_b64 v[17:18], v[9:10], off
	;; [unrolled: 1-line block ×3, first 2 shown]
	v_lshlrev_b64 v[3:4], 3, v[22:23]
	v_lshlrev_b64 v[7:8], 3, v[5:6]
	v_add_nc_u32_e32 v5, 0x64, v22
	v_sub_nc_u32_e32 v0, v114, v0
	v_add_nc_u32_e32 v22, 30, v70
	v_add_nc_u32_e32 v23, 35, v70
	v_add_co_u32 v3, vcc_lo, v1, v3
	s_delay_alu instid0(VALU_DEP_4) | instskip(NEXT) | instid1(VALU_DEP_4)
	v_mad_u64_u32 v[17:18], null, 0x96, v19, v[0:1]
	v_mul_hi_u32 v0, 0x51eb851f, v22
	v_lshlrev_b64 v[9:10], 3, v[5:6]
	v_add_co_ci_u32_e32 v4, vcc_lo, v2, v4, vcc_lo
	v_add_co_u32 v7, vcc_lo, v1, v7
	v_add_co_ci_u32_e32 v8, vcc_lo, v2, v8, vcc_lo
	v_lshrrev_b32_e32 v19, 4, v0
	v_add_co_u32 v9, vcc_lo, v1, v9
	v_dual_mov_b32 v18, v6 :: v_dual_add_nc_u32 v5, 50, v17
	s_delay_alu instid0(VALU_DEP_3)
	v_mul_lo_u32 v0, v19, 50
	v_add_co_ci_u32_e32 v10, vcc_lo, v2, v10, vcc_lo
	s_clause 0x2
	global_store_b64 v[3:4], v[71:72], off
	global_store_b64 v[7:8], v[68:69], off
	;; [unrolled: 1-line block ×3, first 2 shown]
	v_lshlrev_b64 v[7:8], 3, v[5:6]
	v_add_nc_u32_e32 v5, 0x64, v17
	v_lshlrev_b64 v[3:4], 3, v[17:18]
	v_sub_nc_u32_e32 v0, v22, v0
	s_delay_alu instid0(VALU_DEP_3) | instskip(SKIP_1) | instid1(VALU_DEP_3)
	v_lshlrev_b64 v[9:10], 3, v[5:6]
	v_mul_hi_u32 v5, 0x51eb851f, v23
	v_mad_u64_u32 v[17:18], null, 0x96, v19, v[0:1]
	v_add_co_u32 v3, vcc_lo, v1, v3
	v_add_co_ci_u32_e32 v4, vcc_lo, v2, v4, vcc_lo
	v_add_co_u32 v7, vcc_lo, v1, v7
	v_add_co_ci_u32_e32 v8, vcc_lo, v2, v8, vcc_lo
	v_lshrrev_b32_e32 v19, 4, v5
	v_add_co_u32 v9, vcc_lo, v1, v9
	v_dual_mov_b32 v18, v6 :: v_dual_add_nc_u32 v5, 50, v17
	v_add_co_ci_u32_e32 v10, vcc_lo, v2, v10, vcc_lo
	s_clause 0x2
	global_store_b64 v[3:4], v[64:65], off
	global_store_b64 v[7:8], v[11:12], off
	;; [unrolled: 1-line block ×3, first 2 shown]
	v_lshlrev_b64 v[3:4], 3, v[17:18]
	v_lshlrev_b64 v[7:8], 3, v[5:6]
	v_add_nc_u32_e32 v5, 0x64, v17
	v_add_nc_u32_e32 v17, 40, v70
	v_mul_lo_u32 v0, v19, 50
	v_add_co_u32 v3, vcc_lo, v1, v3
	s_delay_alu instid0(VALU_DEP_3)
	v_mul_hi_u32 v18, 0x51eb851f, v17
	v_lshlrev_b64 v[9:10], 3, v[5:6]
	v_add_co_ci_u32_e32 v4, vcc_lo, v2, v4, vcc_lo
	v_sub_nc_u32_e32 v0, v23, v0
	v_add_co_u32 v7, vcc_lo, v1, v7
	v_add_co_ci_u32_e32 v8, vcc_lo, v2, v8, vcc_lo
	v_lshrrev_b32_e32 v18, 4, v18
	s_delay_alu instid0(VALU_DEP_4) | instskip(SKIP_1) | instid1(VALU_DEP_3)
	v_mad_u64_u32 v[11:12], null, 0x96, v19, v[0:1]
	v_dual_mov_b32 v12, v6 :: v_dual_add_nc_u32 v19, 45, v70
	v_mul_lo_u32 v0, v18, 50
	v_add_co_u32 v9, vcc_lo, v1, v9
	v_add_co_ci_u32_e32 v10, vcc_lo, v2, v10, vcc_lo
	v_add_nc_u32_e32 v5, 50, v11
	s_clause 0x2
	global_store_b64 v[3:4], v[60:61], off
	global_store_b64 v[7:8], v[36:37], off
	global_store_b64 v[9:10], v[62:63], off
	v_lshlrev_b64 v[3:4], 3, v[11:12]
	v_sub_nc_u32_e32 v0, v17, v0
	v_mul_hi_u32 v17, 0x51eb851f, v19
	v_lshlrev_b64 v[7:8], 3, v[5:6]
	v_add_nc_u32_e32 v5, 0x64, v11
	s_delay_alu instid0(VALU_DEP_4) | instskip(SKIP_2) | instid1(VALU_DEP_4)
	v_mad_u64_u32 v[11:12], null, 0x96, v18, v[0:1]
	v_add_co_u32 v3, vcc_lo, v1, v3
	v_lshrrev_b32_e32 v17, 4, v17
	v_lshlrev_b64 v[9:10], 3, v[5:6]
	v_add_co_ci_u32_e32 v4, vcc_lo, v2, v4, vcc_lo
	v_add_co_u32 v7, vcc_lo, v1, v7
	s_delay_alu instid0(VALU_DEP_4)
	v_mul_lo_u32 v0, v17, 50
	v_add_co_ci_u32_e32 v8, vcc_lo, v2, v8, vcc_lo
	v_add_co_u32 v9, vcc_lo, v1, v9
	v_add_co_ci_u32_e32 v10, vcc_lo, v2, v10, vcc_lo
	v_mov_b32_e32 v12, v6
	v_sub_nc_u32_e32 v0, v19, v0
	v_add_nc_u32_e32 v5, 50, v11
	s_clause 0x2
	global_store_b64 v[3:4], v[58:59], off
	global_store_b64 v[7:8], v[56:57], off
	;; [unrolled: 1-line block ×3, first 2 shown]
	v_lshlrev_b64 v[3:4], 3, v[11:12]
	v_mad_u64_u32 v[9:10], null, 0x96, v17, v[0:1]
	v_lshlrev_b64 v[7:8], 3, v[5:6]
	v_dual_mov_b32 v10, v6 :: v_dual_add_nc_u32 v5, 0x64, v11
	s_delay_alu instid0(VALU_DEP_4) | instskip(SKIP_1) | instid1(VALU_DEP_3)
	v_add_co_u32 v3, vcc_lo, v1, v3
	v_add_co_ci_u32_e32 v4, vcc_lo, v2, v4, vcc_lo
	v_lshlrev_b64 v[11:12], 3, v[5:6]
	v_add_nc_u32_e32 v5, 50, v9
	v_add_co_u32 v7, vcc_lo, v1, v7
	v_lshlrev_b64 v[13:14], 3, v[9:10]
	v_add_co_ci_u32_e32 v8, vcc_lo, v2, v8, vcc_lo
	s_delay_alu instid0(VALU_DEP_4) | instskip(SKIP_4) | instid1(VALU_DEP_4)
	v_lshlrev_b64 v[17:18], 3, v[5:6]
	v_add_nc_u32_e32 v5, 0x64, v9
	v_add_co_u32 v10, vcc_lo, v1, v11
	v_add_co_ci_u32_e32 v11, vcc_lo, v2, v12, vcc_lo
	v_add_co_u32 v12, vcc_lo, v1, v13
	v_lshlrev_b64 v[5:6], 3, v[5:6]
	v_add_co_ci_u32_e32 v13, vcc_lo, v2, v14, vcc_lo
	v_add_co_u32 v17, vcc_lo, v1, v17
	v_add_co_ci_u32_e32 v18, vcc_lo, v2, v18, vcc_lo
	s_delay_alu instid0(VALU_DEP_4)
	v_add_co_u32 v0, vcc_lo, v1, v5
	v_add_co_ci_u32_e32 v1, vcc_lo, v2, v6, vcc_lo
	s_clause 0x5
	global_store_b64 v[3:4], v[52:53], off
	global_store_b64 v[7:8], v[48:49], off
	;; [unrolled: 1-line block ×6, first 2 shown]
.LBB0_14:
	s_nop 0
	s_sendmsg sendmsg(MSG_DEALLOC_VGPRS)
	s_endpgm
	.section	.rodata,"a",@progbits
	.p2align	6, 0x0
	.amdhsa_kernel fft_rtc_back_len150_factors_10_5_3_wgs_60_tpt_5_halfLds_sp_op_CI_CI_unitstride_sbrr_dirReg
		.amdhsa_group_segment_fixed_size 0
		.amdhsa_private_segment_fixed_size 0
		.amdhsa_kernarg_size 104
		.amdhsa_user_sgpr_count 15
		.amdhsa_user_sgpr_dispatch_ptr 0
		.amdhsa_user_sgpr_queue_ptr 0
		.amdhsa_user_sgpr_kernarg_segment_ptr 1
		.amdhsa_user_sgpr_dispatch_id 0
		.amdhsa_user_sgpr_private_segment_size 0
		.amdhsa_wavefront_size32 1
		.amdhsa_uses_dynamic_stack 0
		.amdhsa_enable_private_segment 0
		.amdhsa_system_sgpr_workgroup_id_x 1
		.amdhsa_system_sgpr_workgroup_id_y 0
		.amdhsa_system_sgpr_workgroup_id_z 0
		.amdhsa_system_sgpr_workgroup_info 0
		.amdhsa_system_vgpr_workitem_id 0
		.amdhsa_next_free_vgpr 116
		.amdhsa_next_free_sgpr 27
		.amdhsa_reserve_vcc 1
		.amdhsa_float_round_mode_32 0
		.amdhsa_float_round_mode_16_64 0
		.amdhsa_float_denorm_mode_32 3
		.amdhsa_float_denorm_mode_16_64 3
		.amdhsa_dx10_clamp 1
		.amdhsa_ieee_mode 1
		.amdhsa_fp16_overflow 0
		.amdhsa_workgroup_processor_mode 1
		.amdhsa_memory_ordered 1
		.amdhsa_forward_progress 0
		.amdhsa_shared_vgpr_count 0
		.amdhsa_exception_fp_ieee_invalid_op 0
		.amdhsa_exception_fp_denorm_src 0
		.amdhsa_exception_fp_ieee_div_zero 0
		.amdhsa_exception_fp_ieee_overflow 0
		.amdhsa_exception_fp_ieee_underflow 0
		.amdhsa_exception_fp_ieee_inexact 0
		.amdhsa_exception_int_div_zero 0
	.end_amdhsa_kernel
	.text
.Lfunc_end0:
	.size	fft_rtc_back_len150_factors_10_5_3_wgs_60_tpt_5_halfLds_sp_op_CI_CI_unitstride_sbrr_dirReg, .Lfunc_end0-fft_rtc_back_len150_factors_10_5_3_wgs_60_tpt_5_halfLds_sp_op_CI_CI_unitstride_sbrr_dirReg
                                        ; -- End function
	.section	.AMDGPU.csdata,"",@progbits
; Kernel info:
; codeLenInByte = 12024
; NumSgprs: 29
; NumVgprs: 116
; ScratchSize: 0
; MemoryBound: 0
; FloatMode: 240
; IeeeMode: 1
; LDSByteSize: 0 bytes/workgroup (compile time only)
; SGPRBlocks: 3
; VGPRBlocks: 14
; NumSGPRsForWavesPerEU: 29
; NumVGPRsForWavesPerEU: 116
; Occupancy: 12
; WaveLimiterHint : 1
; COMPUTE_PGM_RSRC2:SCRATCH_EN: 0
; COMPUTE_PGM_RSRC2:USER_SGPR: 15
; COMPUTE_PGM_RSRC2:TRAP_HANDLER: 0
; COMPUTE_PGM_RSRC2:TGID_X_EN: 1
; COMPUTE_PGM_RSRC2:TGID_Y_EN: 0
; COMPUTE_PGM_RSRC2:TGID_Z_EN: 0
; COMPUTE_PGM_RSRC2:TIDIG_COMP_CNT: 0
	.text
	.p2alignl 7, 3214868480
	.fill 96, 4, 3214868480
	.type	__hip_cuid_f2c1a447980c9fc,@object ; @__hip_cuid_f2c1a447980c9fc
	.section	.bss,"aw",@nobits
	.globl	__hip_cuid_f2c1a447980c9fc
__hip_cuid_f2c1a447980c9fc:
	.byte	0                               ; 0x0
	.size	__hip_cuid_f2c1a447980c9fc, 1

	.ident	"AMD clang version 19.0.0git (https://github.com/RadeonOpenCompute/llvm-project roc-6.4.0 25133 c7fe45cf4b819c5991fe208aaa96edf142730f1d)"
	.section	".note.GNU-stack","",@progbits
	.addrsig
	.addrsig_sym __hip_cuid_f2c1a447980c9fc
	.amdgpu_metadata
---
amdhsa.kernels:
  - .args:
      - .actual_access:  read_only
        .address_space:  global
        .offset:         0
        .size:           8
        .value_kind:     global_buffer
      - .offset:         8
        .size:           8
        .value_kind:     by_value
      - .actual_access:  read_only
        .address_space:  global
        .offset:         16
        .size:           8
        .value_kind:     global_buffer
      - .actual_access:  read_only
        .address_space:  global
        .offset:         24
        .size:           8
        .value_kind:     global_buffer
      - .actual_access:  read_only
        .address_space:  global
        .offset:         32
        .size:           8
        .value_kind:     global_buffer
      - .offset:         40
        .size:           8
        .value_kind:     by_value
      - .actual_access:  read_only
        .address_space:  global
        .offset:         48
        .size:           8
        .value_kind:     global_buffer
      - .actual_access:  read_only
        .address_space:  global
        .offset:         56
        .size:           8
        .value_kind:     global_buffer
      - .offset:         64
        .size:           4
        .value_kind:     by_value
      - .actual_access:  read_only
        .address_space:  global
        .offset:         72
        .size:           8
        .value_kind:     global_buffer
      - .actual_access:  read_only
        .address_space:  global
        .offset:         80
        .size:           8
        .value_kind:     global_buffer
      - .actual_access:  read_only
        .address_space:  global
        .offset:         88
        .size:           8
        .value_kind:     global_buffer
      - .actual_access:  write_only
        .address_space:  global
        .offset:         96
        .size:           8
        .value_kind:     global_buffer
    .group_segment_fixed_size: 0
    .kernarg_segment_align: 8
    .kernarg_segment_size: 104
    .language:       OpenCL C
    .language_version:
      - 2
      - 0
    .max_flat_workgroup_size: 60
    .name:           fft_rtc_back_len150_factors_10_5_3_wgs_60_tpt_5_halfLds_sp_op_CI_CI_unitstride_sbrr_dirReg
    .private_segment_fixed_size: 0
    .sgpr_count:     29
    .sgpr_spill_count: 0
    .symbol:         fft_rtc_back_len150_factors_10_5_3_wgs_60_tpt_5_halfLds_sp_op_CI_CI_unitstride_sbrr_dirReg.kd
    .uniform_work_group_size: 1
    .uses_dynamic_stack: false
    .vgpr_count:     116
    .vgpr_spill_count: 0
    .wavefront_size: 32
    .workgroup_processor_mode: 1
amdhsa.target:   amdgcn-amd-amdhsa--gfx1100
amdhsa.version:
  - 1
  - 2
...

	.end_amdgpu_metadata
